;; amdgpu-corpus repo=pytorch/pytorch kind=compiled arch=gfx1250 opt=O3
	.amdgcn_target "amdgcn-amd-amdhsa--gfx1250"
	.amdhsa_code_object_version 6
	.section	.text._ZN2at6native12_GLOBAL__N_125multi_tensor_apply_kernelINS1_32FusedOptimizerTensorListMetadataILi4EEENS1_22FusedAdamMathFunctorMPIfffN3c108BFloat16ES7_fLi4ELNS0_9ADAM_MODEE1ELb0EEEJPKfdddddbSB_SB_EEEvT_T0_DpT1_,"axG",@progbits,_ZN2at6native12_GLOBAL__N_125multi_tensor_apply_kernelINS1_32FusedOptimizerTensorListMetadataILi4EEENS1_22FusedAdamMathFunctorMPIfffN3c108BFloat16ES7_fLi4ELNS0_9ADAM_MODEE1ELb0EEEJPKfdddddbSB_SB_EEEvT_T0_DpT1_,comdat
	.globl	_ZN2at6native12_GLOBAL__N_125multi_tensor_apply_kernelINS1_32FusedOptimizerTensorListMetadataILi4EEENS1_22FusedAdamMathFunctorMPIfffN3c108BFloat16ES7_fLi4ELNS0_9ADAM_MODEE1ELb0EEEJPKfdddddbSB_SB_EEEvT_T0_DpT1_ ; -- Begin function _ZN2at6native12_GLOBAL__N_125multi_tensor_apply_kernelINS1_32FusedOptimizerTensorListMetadataILi4EEENS1_22FusedAdamMathFunctorMPIfffN3c108BFloat16ES7_fLi4ELNS0_9ADAM_MODEE1ELb0EEEJPKfdddddbSB_SB_EEEvT_T0_DpT1_
	.p2align	8
	.type	_ZN2at6native12_GLOBAL__N_125multi_tensor_apply_kernelINS1_32FusedOptimizerTensorListMetadataILi4EEENS1_22FusedAdamMathFunctorMPIfffN3c108BFloat16ES7_fLi4ELNS0_9ADAM_MODEE1ELb0EEEJPKfdddddbSB_SB_EEEvT_T0_DpT1_,@function
_ZN2at6native12_GLOBAL__N_125multi_tensor_apply_kernelINS1_32FusedOptimizerTensorListMetadataILi4EEENS1_22FusedAdamMathFunctorMPIfffN3c108BFloat16ES7_fLi4ELNS0_9ADAM_MODEE1ELb0EEEJPKfdddddbSB_SB_EEEvT_T0_DpT1_: ; @_ZN2at6native12_GLOBAL__N_125multi_tensor_apply_kernelINS1_32FusedOptimizerTensorListMetadataILi4EEENS1_22FusedAdamMathFunctorMPIfffN3c108BFloat16ES7_fLi4ELNS0_9ADAM_MODEE1ELb0EEEJPKfdddddbSB_SB_EEEvT_T0_DpT1_
; %bb.0:
	s_bfe_u32 s2, ttmp6, 0x4000c
	s_and_b32 s3, ttmp6, 15
	s_add_co_i32 s2, s2, 1
	s_getreg_b32 s4, hwreg(HW_REG_IB_STS2, 6, 4)
	s_mul_i32 s2, ttmp9, s2
	s_mov_b32 s21, 0
	s_add_co_i32 s3, s3, s2
	s_cmp_eq_u32 s4, 0
	s_cselect_b32 s20, ttmp9, s3
	s_delay_alu instid0(SALU_CYCLE_1)
	v_mov_b32_e32 v1, s20
	global_load_u8 v1, v1, s[0:1] offset:1728
	s_clause 0x1
	s_load_b256 s[4:11], s[0:1], 0xd10
	s_load_b128 s[16:19], s[0:1], 0xd30
	s_wait_kmcnt 0x0
	s_cmp_eq_u64 s[4:5], 0
	s_wait_loadcnt 0x0
	v_readfirstlane_b32 s2, v1
	s_cbranch_scc1 .LBB0_20
; %bb.1:
	s_load_b32 s3, s[4:5], 0x0
	s_wait_xcnt 0x0
	s_wait_kmcnt 0x0
	v_mov_b32_e32 v42, s3
	s_cbranch_execnz .LBB0_3
.LBB0_2:
	v_cvt_f32_f64_e32 v42, s[6:7]
.LBB0_3:
	s_load_b128 s[12:15], s[0:1], 0xd48
	s_wait_kmcnt 0x0
	s_cmp_eq_u64 s[14:15], 0
	s_cselect_b32 s3, -1, 0
	s_delay_alu instid0(SALU_CYCLE_1)
	s_and_b32 vcc_lo, exec_lo, s3
	s_cbranch_vccnz .LBB0_5
; %bb.4:
	s_load_b32 s3, s[14:15], 0x0
	s_wait_kmcnt 0x0
	s_cmp_neq_f32 s3, 1.0
	s_cselect_b32 s3, -1, 0
.LBB0_5:
	s_delay_alu instid0(SALU_CYCLE_1)
	s_and_not1_b32 vcc_lo, exec_lo, s3
	s_cbranch_vccnz .LBB0_82
; %bb.6:
	s_load_b32 s3, s[0:1], 0xd40
	v_cmp_neq_f64_e64 vcc_lo, s[8:9], 1.0
	s_mov_b64 s[22:23], 0x3fe5555555555555
	s_mov_b64 s[6:7], 0x3fe62e42fefa39ef
	s_mov_b32 s41, 0
	s_wait_kmcnt 0x0
	s_bitcmp1_b32 s3, 0
	s_cselect_b32 s33, -1, 0
	s_and_b32 s24, s2, 0xff
	s_clause 0x1
	s_load_b64 s[2:3], s[0:1], s24 offset:0x5a0 scale_offset
	s_load_b64 s[26:27], s[0:1], s24 offset:0x480 scale_offset
	s_wait_kmcnt 0x0
	s_load_b32 s2, s[2:3], 0x0
	s_wait_kmcnt 0x0
	v_cvt_f64_f32_e32 v[4:5], s2
	s_delay_alu instid0(VALU_DEP_1) | instskip(NEXT) | instid1(VALU_DEP_2)
	v_cndmask_b32_e32 v3, 0x3ff00000, v5, vcc_lo
	v_cndmask_b32_e32 v2, 0, v4, vcc_lo
	s_delay_alu instid0(VALU_DEP_1) | instskip(SKIP_3) | instid1(SALU_CYCLE_1)
	v_cmp_neq_f64_e32 vcc_lo, 0, v[2:3]
	s_and_b32 s2, vcc_lo, exec_lo
	s_cselect_b32 s15, s9, 0x3ff00000
	s_cselect_b32 s14, s8, 0
	v_frexp_mant_f64_e64 v[6:7], |s[14:15]|
	v_cmp_lt_f64_e64 s25, |s[14:15]|, 1.0
	v_cmp_neq_f64_e64 s28, |s[14:15]|, 1.0
	v_cmp_eq_f64_e64 s29, s[14:15], 0
	v_cmp_class_f64_e64 s30, s[14:15], 0x204
	v_cmp_gt_f64_e32 vcc_lo, s[22:23], v[6:7]
	v_cndmask_b32_e64 v1, 0, 1, vcc_lo
	s_delay_alu instid0(VALU_DEP_1) | instskip(SKIP_1) | instid1(VALU_DEP_2)
	v_ldexp_f64 v[6:7], v[6:7], v1
	v_frexp_exp_i32_f64_e32 v1, s[14:15]
	v_add_f64_e32 v[8:9], 1.0, v[6:7]
	v_add_f64_e32 v[14:15], -1.0, v[6:7]
	s_delay_alu instid0(VALU_DEP_3) | instskip(SKIP_1) | instid1(VALU_DEP_4)
	v_subrev_co_ci_u32_e64 v1, null, 0, v1, vcc_lo
	v_cmp_neq_f64_e64 s5, v[2:3], |v[2:3]|
	v_rcp_f64_e32 v[10:11], v[8:9]
	v_add_f64_e32 v[16:17], -1.0, v[8:9]
	s_delay_alu instid0(VALU_DEP_1) | instskip(NEXT) | instid1(TRANS32_DEP_1)
	v_add_f64_e64 v[6:7], v[6:7], -v[16:17]
	v_fma_f64 v[12:13], -v[8:9], v[10:11], 1.0
	s_delay_alu instid0(VALU_DEP_1) | instskip(NEXT) | instid1(VALU_DEP_1)
	v_fmac_f64_e32 v[10:11], v[12:13], v[10:11]
	v_fma_f64 v[12:13], -v[8:9], v[10:11], 1.0
	s_delay_alu instid0(VALU_DEP_1) | instskip(NEXT) | instid1(VALU_DEP_1)
	v_fmac_f64_e32 v[10:11], v[12:13], v[10:11]
	v_mul_f64_e32 v[12:13], v[14:15], v[10:11]
	s_delay_alu instid0(VALU_DEP_1) | instskip(NEXT) | instid1(VALU_DEP_1)
	v_mul_f64_e32 v[18:19], v[8:9], v[12:13]
	v_fma_f64 v[8:9], v[12:13], v[8:9], -v[18:19]
	s_delay_alu instid0(VALU_DEP_1) | instskip(NEXT) | instid1(VALU_DEP_1)
	v_fmac_f64_e32 v[8:9], v[12:13], v[6:7]
	v_add_f64_e32 v[6:7], v[18:19], v[8:9]
	s_delay_alu instid0(VALU_DEP_1) | instskip(SKIP_1) | instid1(VALU_DEP_2)
	v_add_f64_e64 v[16:17], v[14:15], -v[6:7]
	v_add_f64_e64 v[18:19], v[6:7], -v[18:19]
	v_add_f64_e64 v[14:15], v[14:15], -v[16:17]
	s_delay_alu instid0(VALU_DEP_2) | instskip(NEXT) | instid1(VALU_DEP_2)
	v_add_f64_e64 v[8:9], v[18:19], -v[8:9]
	v_add_f64_e64 v[6:7], v[14:15], -v[6:7]
	s_delay_alu instid0(VALU_DEP_1) | instskip(NEXT) | instid1(VALU_DEP_1)
	v_add_f64_e32 v[6:7], v[8:9], v[6:7]
	v_add_f64_e32 v[6:7], v[16:17], v[6:7]
	v_mov_b64_e32 v[16:17], 0x3fba6564968915a9
	s_delay_alu instid0(VALU_DEP_2) | instskip(NEXT) | instid1(VALU_DEP_1)
	v_mul_f64_e32 v[6:7], v[10:11], v[6:7]
	v_add_f64_e32 v[8:9], v[12:13], v[6:7]
	s_delay_alu instid0(VALU_DEP_1) | instskip(SKIP_1) | instid1(VALU_DEP_2)
	v_add_f64_e64 v[10:11], v[8:9], -v[12:13]
	v_mul_f64_e32 v[12:13], v[8:9], v[8:9]
	v_add_f64_e64 v[6:7], v[6:7], -v[10:11]
	s_delay_alu instid0(VALU_DEP_2) | instskip(NEXT) | instid1(VALU_DEP_2)
	v_fma_f64 v[10:11], v[8:9], v[8:9], -v[12:13]
	v_add_f64_e32 v[14:15], v[6:7], v[6:7]
	s_delay_alu instid0(VALU_DEP_1) | instskip(NEXT) | instid1(VALU_DEP_1)
	v_fmac_f64_e32 v[10:11], v[8:9], v[14:15]
	v_add_f64_e32 v[14:15], v[12:13], v[10:11]
	s_delay_alu instid0(VALU_DEP_1) | instskip(SKIP_2) | instid1(VALU_DEP_3)
	v_fmamk_f64 v[18:19], v[14:15], 0x3fbdee674222de17, v[16:17]
	v_add_f64_e64 v[12:13], v[14:15], -v[12:13]
	v_mul_f64_e32 v[24:25], v[8:9], v[14:15]
	v_fmaak_f64 v[18:19], v[14:15], v[18:19], 0x3fbe25e43abe935a
	s_delay_alu instid0(VALU_DEP_1) | instskip(NEXT) | instid1(VALU_DEP_1)
	v_fmaak_f64 v[18:19], v[14:15], v[18:19], 0x3fc110ef47e6c9c2
	v_fmaak_f64 v[18:19], v[14:15], v[18:19], 0x3fc3b13bcfa74449
	s_delay_alu instid0(VALU_DEP_1) | instskip(SKIP_1) | instid1(VALU_DEP_2)
	v_fmaak_f64 v[18:19], v[14:15], v[18:19], 0x3fc745d171bf3c30
	v_add_f64_e64 v[10:11], v[10:11], -v[12:13]
	v_fmaak_f64 v[18:19], v[14:15], v[18:19], 0x3fcc71c71c7792ce
	s_delay_alu instid0(VALU_DEP_1) | instskip(NEXT) | instid1(VALU_DEP_1)
	v_fmaak_f64 v[18:19], v[14:15], v[18:19], 0x3fd24924924920da
	v_fmaak_f64 v[18:19], v[14:15], v[18:19], 0x3fd999999999999c
	s_delay_alu instid0(VALU_DEP_1) | instskip(NEXT) | instid1(VALU_DEP_1)
	v_mul_f64_e32 v[20:21], v[14:15], v[18:19]
	v_fma_f64 v[12:13], v[14:15], v[18:19], -v[20:21]
	s_delay_alu instid0(VALU_DEP_1) | instskip(NEXT) | instid1(VALU_DEP_1)
	v_fmac_f64_e32 v[12:13], v[10:11], v[18:19]
	v_add_f64_e32 v[18:19], v[20:21], v[12:13]
	s_delay_alu instid0(VALU_DEP_1) | instskip(SKIP_1) | instid1(VALU_DEP_2)
	v_add_f64_e32 v[22:23], 0x3fe5555555555555, v[18:19]
	v_add_f64_e64 v[20:21], v[18:19], -v[20:21]
	v_add_f64_e32 v[26:27], 0xbfe5555555555555, v[22:23]
	s_delay_alu instid0(VALU_DEP_2) | instskip(SKIP_1) | instid1(VALU_DEP_3)
	v_add_f64_e64 v[12:13], v[12:13], -v[20:21]
	v_fma_f64 v[20:21], v[14:15], v[8:9], -v[24:25]
	v_add_f64_e64 v[18:19], v[18:19], -v[26:27]
	s_delay_alu instid0(VALU_DEP_3) | instskip(NEXT) | instid1(VALU_DEP_3)
	v_add_f64_e32 v[12:13], 0x3c8543b0d5df274d, v[12:13]
	v_fmac_f64_e32 v[20:21], v[14:15], v[6:7]
	v_ldexp_f64 v[6:7], v[6:7], 1
	s_delay_alu instid0(VALU_DEP_3) | instskip(NEXT) | instid1(VALU_DEP_3)
	v_add_f64_e32 v[12:13], v[12:13], v[18:19]
	v_fmac_f64_e32 v[20:21], v[10:11], v[8:9]
	v_ldexp_f64 v[8:9], v[8:9], 1
	s_delay_alu instid0(VALU_DEP_3) | instskip(NEXT) | instid1(VALU_DEP_3)
	v_add_f64_e32 v[10:11], v[22:23], v[12:13]
	v_add_f64_e32 v[14:15], v[24:25], v[20:21]
	s_delay_alu instid0(VALU_DEP_2) | instskip(NEXT) | instid1(VALU_DEP_2)
	v_add_f64_e64 v[18:19], v[22:23], -v[10:11]
	v_mul_f64_e32 v[22:23], v[14:15], v[10:11]
	v_add_f64_e64 v[24:25], v[14:15], -v[24:25]
	s_delay_alu instid0(VALU_DEP_3) | instskip(NEXT) | instid1(VALU_DEP_3)
	v_add_f64_e32 v[12:13], v[12:13], v[18:19]
	v_fma_f64 v[18:19], v[14:15], v[10:11], -v[22:23]
	s_delay_alu instid0(VALU_DEP_3) | instskip(NEXT) | instid1(VALU_DEP_2)
	v_add_f64_e64 v[20:21], v[20:21], -v[24:25]
	v_fmac_f64_e32 v[18:19], v[14:15], v[12:13]
	v_cvt_f64_i32_e32 v[12:13], v1
	s_delay_alu instid0(VALU_DEP_2) | instskip(NEXT) | instid1(VALU_DEP_1)
	v_fmac_f64_e32 v[18:19], v[20:21], v[10:11]
	v_add_f64_e32 v[10:11], v[22:23], v[18:19]
	s_delay_alu instid0(VALU_DEP_1) | instskip(SKIP_2) | instid1(VALU_DEP_3)
	v_add_f64_e32 v[14:15], v[8:9], v[10:11]
	v_add_f64_e64 v[20:21], v[10:11], -v[22:23]
	v_mul_f64_e32 v[22:23], 0x3fe62e42fefa39ef, v[12:13]
	v_add_f64_e64 v[8:9], v[14:15], -v[8:9]
	s_delay_alu instid0(VALU_DEP_3) | instskip(NEXT) | instid1(VALU_DEP_3)
	v_add_f64_e64 v[18:19], v[18:19], -v[20:21]
	v_fma_f64 v[20:21], v[12:13], s[6:7], -v[22:23]
	s_delay_alu instid0(VALU_DEP_3) | instskip(NEXT) | instid1(VALU_DEP_3)
	v_add_f64_e64 v[8:9], v[10:11], -v[8:9]
	v_add_f64_e32 v[6:7], v[6:7], v[18:19]
	s_delay_alu instid0(VALU_DEP_3) | instskip(NEXT) | instid1(VALU_DEP_2)
	v_fmac_f64_e32 v[20:21], 0x3c7abc9e3b39803f, v[12:13]
	v_add_f64_e32 v[6:7], v[6:7], v[8:9]
	s_delay_alu instid0(VALU_DEP_2) | instskip(NEXT) | instid1(VALU_DEP_2)
	v_add_f64_e32 v[8:9], v[22:23], v[20:21]
	v_add_f64_e32 v[10:11], v[14:15], v[6:7]
	s_delay_alu instid0(VALU_DEP_2) | instskip(NEXT) | instid1(VALU_DEP_2)
	v_add_f64_e64 v[22:23], v[8:9], -v[22:23]
	v_add_f64_e32 v[12:13], v[8:9], v[10:11]
	v_add_f64_e64 v[14:15], v[10:11], -v[14:15]
	s_delay_alu instid0(VALU_DEP_3) | instskip(NEXT) | instid1(VALU_DEP_3)
	v_add_f64_e64 v[20:21], v[20:21], -v[22:23]
	v_add_f64_e64 v[18:19], v[12:13], -v[8:9]
	s_delay_alu instid0(VALU_DEP_3) | instskip(NEXT) | instid1(VALU_DEP_2)
	v_add_f64_e64 v[6:7], v[6:7], -v[14:15]
	v_add_f64_e64 v[24:25], v[12:13], -v[18:19]
	;; [unrolled: 1-line block ×3, first 2 shown]
	s_delay_alu instid0(VALU_DEP_3) | instskip(NEXT) | instid1(VALU_DEP_3)
	v_add_f64_e32 v[14:15], v[20:21], v[6:7]
	v_add_f64_e64 v[8:9], v[8:9], -v[24:25]
	s_delay_alu instid0(VALU_DEP_1) | instskip(NEXT) | instid1(VALU_DEP_3)
	v_add_f64_e32 v[8:9], v[10:11], v[8:9]
	v_add_f64_e64 v[10:11], v[14:15], -v[20:21]
	s_delay_alu instid0(VALU_DEP_2) | instskip(NEXT) | instid1(VALU_DEP_2)
	v_add_f64_e32 v[8:9], v[14:15], v[8:9]
	v_add_f64_e64 v[14:15], v[14:15], -v[10:11]
	v_add_f64_e64 v[6:7], v[6:7], -v[10:11]
	s_delay_alu instid0(VALU_DEP_3) | instskip(NEXT) | instid1(VALU_DEP_3)
	v_add_f64_e32 v[18:19], v[12:13], v[8:9]
	v_add_f64_e64 v[10:11], v[20:21], -v[14:15]
	v_mov_b64_e32 v[20:21], 0x3e928af3fca7ab0c
	s_delay_alu instid0(VALU_DEP_3) | instskip(NEXT) | instid1(VALU_DEP_3)
	v_add_f64_e64 v[12:13], v[18:19], -v[12:13]
	v_add_f64_e32 v[6:7], v[6:7], v[10:11]
	s_delay_alu instid0(VALU_DEP_2) | instskip(NEXT) | instid1(VALU_DEP_1)
	v_add_f64_e64 v[8:9], v[8:9], -v[12:13]
	v_add_f64_e32 v[6:7], v[6:7], v[8:9]
	s_delay_alu instid0(VALU_DEP_1) | instskip(NEXT) | instid1(VALU_DEP_1)
	v_add_f64_e32 v[8:9], v[18:19], v[6:7]
	v_add_f64_e64 v[10:11], v[8:9], -v[18:19]
	v_mul_f64_e32 v[12:13], v[2:3], v[8:9]
	s_delay_alu instid0(VALU_DEP_2) | instskip(NEXT) | instid1(VALU_DEP_2)
	v_add_f64_e64 v[6:7], v[6:7], -v[10:11]
	v_fma_f64 v[8:9], v[2:3], v[8:9], -v[12:13]
	v_cmp_class_f64_e64 vcc_lo, v[12:13], 0x204
	s_delay_alu instid0(VALU_DEP_2) | instskip(NEXT) | instid1(VALU_DEP_1)
	v_fmac_f64_e32 v[8:9], v[2:3], v[6:7]
	v_add_f64_e32 v[6:7], v[12:13], v[8:9]
	s_delay_alu instid0(VALU_DEP_1) | instskip(SKIP_1) | instid1(VALU_DEP_2)
	v_dual_cndmask_b32 v11, v7, v13 :: v_dual_cndmask_b32 v10, v6, v12
	v_add_f64_e64 v[6:7], v[6:7], -v[12:13]
	v_mul_f64_e32 v[14:15], 0x3ff71547652b82fe, v[10:11]
	v_cmp_nlt_f64_e64 s2, 0x40900000, v[10:11]
	v_cmp_neq_f64_e64 vcc_lo, 0x7ff00000, |v[10:11]|
	v_cmp_ngt_f64_e64 s3, 0xc090cc00, v[10:11]
	v_add_f64_e64 v[6:7], v[8:9], -v[6:7]
	v_trunc_f64_e32 v[8:9], v[2:3]
	v_rndne_f64_e32 v[14:15], v[14:15]
	s_delay_alu instid0(VALU_DEP_3) | instskip(SKIP_1) | instid1(VALU_DEP_2)
	v_dual_cndmask_b32 v7, 0, v7 :: v_dual_cndmask_b32 v6, 0, v6
	s_and_b32 vcc_lo, s3, s2
	v_fmamk_f64 v[18:19], v[14:15], 0xbfe62e42fefa39ef, v[10:11]
	v_cvt_i32_f64_e32 v1, v[14:15]
	s_delay_alu instid0(VALU_DEP_2) | instskip(NEXT) | instid1(VALU_DEP_1)
	v_fmac_f64_e32 v[18:19], 0xbc7abc9e3b39803f, v[14:15]
	v_fmamk_f64 v[22:23], v[18:19], 0x3e5ade156a5dcb37, v[20:21]
	s_delay_alu instid0(VALU_DEP_1) | instskip(NEXT) | instid1(VALU_DEP_1)
	v_fmaak_f64 v[22:23], v[18:19], v[22:23], 0x3ec71dee623fde64
	v_fmaak_f64 v[22:23], v[18:19], v[22:23], 0x3efa01997c89e6b0
	s_delay_alu instid0(VALU_DEP_1) | instskip(NEXT) | instid1(VALU_DEP_1)
	v_fmaak_f64 v[22:23], v[18:19], v[22:23], 0x3f2a01a014761f6e
	v_fmaak_f64 v[22:23], v[18:19], v[22:23], 0x3f56c16c1852b7b0
	;; [unrolled: 3-line block ×4, first 2 shown]
	s_delay_alu instid0(VALU_DEP_1) | instskip(NEXT) | instid1(VALU_DEP_1)
	v_fma_f64 v[22:23], v[18:19], v[22:23], 1.0
	v_fma_f64 v[14:15], v[18:19], v[22:23], 1.0
	s_delay_alu instid0(VALU_DEP_1) | instskip(SKIP_1) | instid1(VALU_DEP_2)
	v_ldexp_f64 v[12:13], v[14:15], v1
	v_mul_f64_e32 v[14:15], 0.5, v[2:3]
	v_cndmask_b32_e64 v1, 0x7ff00000, v13, s2
	s_delay_alu instid0(VALU_DEP_2) | instskip(NEXT) | instid1(VALU_DEP_4)
	v_trunc_f64_e32 v[10:11], v[14:15]
	v_cndmask_b32_e32 v12, 0, v12, vcc_lo
	v_cmp_eq_f64_e32 vcc_lo, v[8:9], v[2:3]
	s_delay_alu instid0(VALU_DEP_4) | instskip(NEXT) | instid1(VALU_DEP_1)
	v_cndmask_b32_e64 v13, 0, v1, s3
	v_fma_f64 v[6:7], v[12:13], v[6:7], v[12:13]
	v_cmp_class_f64_e64 s3, v[12:13], 0x204
	v_cmp_neq_f64_e64 s2, v[10:11], v[14:15]
	s_delay_alu instid0(VALU_DEP_2) | instskip(SKIP_1) | instid1(VALU_DEP_2)
	v_dual_cndmask_b32 v1, v6, v12, s3 :: v_dual_cndmask_b32 v6, v7, v13, s3
	v_cmp_gt_f64_e64 s3, 0, v[2:3]
	v_cndmask_b32_e32 v8, 0, v1, vcc_lo
	s_and_b32 s4, vcc_lo, s2
	s_delay_alu instid0(SALU_CYCLE_1) | instskip(SKIP_4) | instid1(VALU_DEP_2)
	s_and_b32 s2, s4, exec_lo
	s_cselect_b32 s2, s15, 0x3ff00000
	s_xor_b32 s5, s5, s25
	v_bfi_b32 v6, 0x7fffffff, v6, s2
	v_cmp_neq_f64_e64 s2, s[10:11], 1.0
	v_cndmask_b32_e32 v7, 0x7ff80000, v6, vcc_lo
	v_cmp_lt_f64_e64 vcc_lo, s[14:15], 0
	s_delay_alu instid0(VALU_DEP_3)
	v_cndmask_b32_e64 v5, 0x3ff00000, v5, s2
	v_cndmask_b32_e64 v4, 0, v4, s2
	s_and_b32 s2, s5, exec_lo
	s_cselect_b32 s2, 0, 0x7ff00000
	s_and_b32 s5, s28, exec_lo
	v_cmp_class_f64_e64 s5, v[2:3], 0x204
	v_dual_cndmask_b32 v1, v1, v8 :: v_dual_cndmask_b32 v6, v6, v7
	v_cmp_neq_f64_e32 vcc_lo, 0, v[4:5]
	s_cselect_b32 s2, s2, 0x3ff00000
	s_xor_b32 s3, s3, s29
	s_delay_alu instid0(VALU_DEP_2)
	v_cndmask_b32_e64 v6, v6, s2, s5
	s_or_b32 s2, s29, s30
	s_and_b32 s3, s3, exec_lo
	s_cselect_b32 s3, 0, 0x7ff00000
	s_and_b32 s4, s4, exec_lo
	s_cselect_b32 s4, s15, 0
	s_or_b32 s25, s2, s5
	v_mov_b32_e32 v7, s4
	s_delay_alu instid0(VALU_DEP_1) | instskip(NEXT) | instid1(VALU_DEP_1)
	v_bfi_b32 v7, 0x7fffffff, s3, v7
	v_cndmask_b32_e64 v7, v6, v7, s2
	s_and_b32 s2, vcc_lo, exec_lo
	s_cselect_b32 s5, s11, 0x3ff00000
	s_cselect_b32 s4, s10, 0
	s_delay_alu instid0(SALU_CYCLE_1) | instskip(SKIP_1) | instid1(VALU_DEP_2)
	v_frexp_mant_f64_e64 v[8:9], |s[4:5]|
	v_cmp_class_f64_e64 s28, s[4:5], 0x204
	v_cmp_gt_f64_e32 vcc_lo, s[22:23], v[8:9]
	v_cmp_neq_f64_e64 s22, |s[4:5]|, 1.0
	v_cmp_eq_f64_e64 s23, s[4:5], 0
	v_cndmask_b32_e64 v6, 0, 1, vcc_lo
	s_delay_alu instid0(VALU_DEP_1) | instskip(SKIP_1) | instid1(VALU_DEP_2)
	v_ldexp_f64 v[8:9], v[8:9], v6
	v_frexp_exp_i32_f64_e32 v6, s[4:5]
	v_add_f64_e32 v[10:11], 1.0, v[8:9]
	v_add_f64_e32 v[18:19], -1.0, v[8:9]
	s_delay_alu instid0(VALU_DEP_3) | instskip(NEXT) | instid1(VALU_DEP_3)
	v_subrev_co_ci_u32_e64 v6, null, 0, v6, vcc_lo
	v_rcp_f64_e32 v[12:13], v[10:11]
	v_add_f64_e32 v[22:23], -1.0, v[10:11]
	s_delay_alu instid0(VALU_DEP_1) | instskip(NEXT) | instid1(TRANS32_DEP_1)
	v_add_f64_e64 v[8:9], v[8:9], -v[22:23]
	v_fma_f64 v[14:15], -v[10:11], v[12:13], 1.0
	s_delay_alu instid0(VALU_DEP_1) | instskip(NEXT) | instid1(VALU_DEP_1)
	v_fmac_f64_e32 v[12:13], v[14:15], v[12:13]
	v_fma_f64 v[14:15], -v[10:11], v[12:13], 1.0
	s_delay_alu instid0(VALU_DEP_1) | instskip(NEXT) | instid1(VALU_DEP_1)
	v_fmac_f64_e32 v[12:13], v[14:15], v[12:13]
	v_mul_f64_e32 v[14:15], v[18:19], v[12:13]
	s_delay_alu instid0(VALU_DEP_1) | instskip(NEXT) | instid1(VALU_DEP_1)
	v_mul_f64_e32 v[24:25], v[10:11], v[14:15]
	v_fma_f64 v[10:11], v[14:15], v[10:11], -v[24:25]
	s_delay_alu instid0(VALU_DEP_1) | instskip(NEXT) | instid1(VALU_DEP_1)
	v_fmac_f64_e32 v[10:11], v[14:15], v[8:9]
	v_add_f64_e32 v[8:9], v[24:25], v[10:11]
	s_delay_alu instid0(VALU_DEP_1) | instskip(SKIP_1) | instid1(VALU_DEP_2)
	v_add_f64_e64 v[22:23], v[18:19], -v[8:9]
	v_add_f64_e64 v[24:25], v[8:9], -v[24:25]
	;; [unrolled: 1-line block ×3, first 2 shown]
	s_delay_alu instid0(VALU_DEP_2) | instskip(NEXT) | instid1(VALU_DEP_2)
	v_add_f64_e64 v[10:11], v[24:25], -v[10:11]
	v_add_f64_e64 v[8:9], v[18:19], -v[8:9]
	s_delay_alu instid0(VALU_DEP_1) | instskip(NEXT) | instid1(VALU_DEP_1)
	v_add_f64_e32 v[8:9], v[10:11], v[8:9]
	v_add_f64_e32 v[8:9], v[22:23], v[8:9]
	v_mov_b64_e32 v[22:23], 0x3fbe25e43abe935a
	s_delay_alu instid0(VALU_DEP_2) | instskip(NEXT) | instid1(VALU_DEP_1)
	v_mul_f64_e32 v[8:9], v[12:13], v[8:9]
	v_add_f64_e32 v[10:11], v[14:15], v[8:9]
	s_delay_alu instid0(VALU_DEP_1) | instskip(SKIP_1) | instid1(VALU_DEP_2)
	v_add_f64_e64 v[12:13], v[10:11], -v[14:15]
	v_mul_f64_e32 v[14:15], v[10:11], v[10:11]
	v_add_f64_e64 v[8:9], v[8:9], -v[12:13]
	s_delay_alu instid0(VALU_DEP_2) | instskip(NEXT) | instid1(VALU_DEP_2)
	v_fma_f64 v[12:13], v[10:11], v[10:11], -v[14:15]
	v_add_f64_e32 v[18:19], v[8:9], v[8:9]
	s_delay_alu instid0(VALU_DEP_1) | instskip(NEXT) | instid1(VALU_DEP_1)
	v_fmac_f64_e32 v[12:13], v[10:11], v[18:19]
	v_add_f64_e32 v[18:19], v[14:15], v[12:13]
	s_delay_alu instid0(VALU_DEP_1) | instskip(SKIP_2) | instid1(VALU_DEP_3)
	v_fmac_f64_e32 v[16:17], 0x3fbdee674222de17, v[18:19]
	v_add_f64_e64 v[14:15], v[18:19], -v[14:15]
	v_mul_f64_e32 v[26:27], v[10:11], v[18:19]
	v_fmac_f64_e32 v[22:23], v[18:19], v[16:17]
	v_mov_b64_e32 v[16:17], 0x3fc110ef47e6c9c2
	s_delay_alu instid0(VALU_DEP_4) | instskip(NEXT) | instid1(VALU_DEP_2)
	v_add_f64_e64 v[12:13], v[12:13], -v[14:15]
	v_fmac_f64_e32 v[16:17], v[18:19], v[22:23]
	v_mov_b64_e32 v[22:23], 0x3fc3b13bcfa74449
	s_delay_alu instid0(VALU_DEP_1) | instskip(SKIP_1) | instid1(VALU_DEP_1)
	v_fmac_f64_e32 v[22:23], v[18:19], v[16:17]
	v_mov_b64_e32 v[16:17], 0x3fc745d171bf3c30
	v_fmac_f64_e32 v[16:17], v[18:19], v[22:23]
	v_mov_b64_e32 v[22:23], 0x3fcc71c71c7792ce
	s_delay_alu instid0(VALU_DEP_1) | instskip(SKIP_1) | instid1(VALU_DEP_1)
	v_fmac_f64_e32 v[22:23], v[18:19], v[16:17]
	v_mov_b64_e32 v[16:17], 0x3fd24924924920da
	v_fmac_f64_e32 v[16:17], v[18:19], v[22:23]
	v_mov_b64_e32 v[22:23], 0x3fd999999999999c
	s_delay_alu instid0(VALU_DEP_1) | instskip(NEXT) | instid1(VALU_DEP_1)
	v_fmac_f64_e32 v[22:23], v[18:19], v[16:17]
	v_mul_f64_e32 v[16:17], v[18:19], v[22:23]
	s_delay_alu instid0(VALU_DEP_1) | instskip(NEXT) | instid1(VALU_DEP_1)
	v_fma_f64 v[14:15], v[18:19], v[22:23], -v[16:17]
	v_fmac_f64_e32 v[14:15], v[12:13], v[22:23]
	s_delay_alu instid0(VALU_DEP_1) | instskip(NEXT) | instid1(VALU_DEP_1)
	v_add_f64_e32 v[22:23], v[16:17], v[14:15]
	v_add_f64_e32 v[24:25], 0x3fe5555555555555, v[22:23]
	v_add_f64_e64 v[16:17], v[22:23], -v[16:17]
	s_delay_alu instid0(VALU_DEP_2) | instskip(NEXT) | instid1(VALU_DEP_2)
	v_add_f64_e32 v[28:29], 0xbfe5555555555555, v[24:25]
	v_add_f64_e64 v[14:15], v[14:15], -v[16:17]
	v_fma_f64 v[16:17], v[18:19], v[10:11], -v[26:27]
	s_delay_alu instid0(VALU_DEP_3) | instskip(NEXT) | instid1(VALU_DEP_3)
	v_add_f64_e64 v[22:23], v[22:23], -v[28:29]
	v_add_f64_e32 v[14:15], 0x3c8543b0d5df274d, v[14:15]
	s_delay_alu instid0(VALU_DEP_3) | instskip(SKIP_1) | instid1(VALU_DEP_3)
	v_fmac_f64_e32 v[16:17], v[18:19], v[8:9]
	v_ldexp_f64 v[8:9], v[8:9], 1
	v_add_f64_e32 v[14:15], v[14:15], v[22:23]
	s_delay_alu instid0(VALU_DEP_3) | instskip(SKIP_1) | instid1(VALU_DEP_3)
	v_fmac_f64_e32 v[16:17], v[12:13], v[10:11]
	v_ldexp_f64 v[10:11], v[10:11], 1
	v_add_f64_e32 v[12:13], v[24:25], v[14:15]
	s_delay_alu instid0(VALU_DEP_3) | instskip(NEXT) | instid1(VALU_DEP_2)
	v_add_f64_e32 v[18:19], v[26:27], v[16:17]
	v_add_f64_e64 v[22:23], v[24:25], -v[12:13]
	s_delay_alu instid0(VALU_DEP_2) | instskip(SKIP_1) | instid1(VALU_DEP_3)
	v_mul_f64_e32 v[24:25], v[18:19], v[12:13]
	v_add_f64_e64 v[26:27], v[18:19], -v[26:27]
	v_add_f64_e32 v[14:15], v[14:15], v[22:23]
	s_delay_alu instid0(VALU_DEP_3) | instskip(NEXT) | instid1(VALU_DEP_3)
	v_fma_f64 v[22:23], v[18:19], v[12:13], -v[24:25]
	v_add_f64_e64 v[16:17], v[16:17], -v[26:27]
	s_delay_alu instid0(VALU_DEP_2) | instskip(SKIP_1) | instid1(VALU_DEP_2)
	v_fmac_f64_e32 v[22:23], v[18:19], v[14:15]
	v_cvt_f64_i32_e32 v[14:15], v6
	v_fmac_f64_e32 v[22:23], v[16:17], v[12:13]
	s_delay_alu instid0(VALU_DEP_1) | instskip(NEXT) | instid1(VALU_DEP_1)
	v_add_f64_e32 v[12:13], v[24:25], v[22:23]
	v_add_f64_e32 v[16:17], v[10:11], v[12:13]
	v_add_f64_e64 v[18:19], v[12:13], -v[24:25]
	v_mul_f64_e32 v[24:25], 0x3fe62e42fefa39ef, v[14:15]
	s_delay_alu instid0(VALU_DEP_3) | instskip(NEXT) | instid1(VALU_DEP_3)
	v_add_f64_e64 v[10:11], v[16:17], -v[10:11]
	v_add_f64_e64 v[18:19], v[22:23], -v[18:19]
	s_delay_alu instid0(VALU_DEP_3) | instskip(SKIP_1) | instid1(VALU_DEP_4)
	v_fma_f64 v[22:23], v[14:15], s[6:7], -v[24:25]
	v_cmp_lt_f64_e64 s7, |s[4:5]|, 1.0
	v_add_f64_e64 v[10:11], v[12:13], -v[10:11]
	s_delay_alu instid0(VALU_DEP_4) | instskip(NEXT) | instid1(VALU_DEP_4)
	v_add_f64_e32 v[8:9], v[8:9], v[18:19]
	v_fmac_f64_e32 v[22:23], 0x3c7abc9e3b39803f, v[14:15]
	s_delay_alu instid0(VALU_DEP_2) | instskip(NEXT) | instid1(VALU_DEP_2)
	v_add_f64_e32 v[8:9], v[8:9], v[10:11]
	v_add_f64_e32 v[10:11], v[24:25], v[22:23]
	s_delay_alu instid0(VALU_DEP_2) | instskip(NEXT) | instid1(VALU_DEP_2)
	v_add_f64_e32 v[12:13], v[16:17], v[8:9]
	v_add_f64_e64 v[24:25], v[10:11], -v[24:25]
	s_delay_alu instid0(VALU_DEP_2) | instskip(SKIP_1) | instid1(VALU_DEP_3)
	v_add_f64_e32 v[14:15], v[10:11], v[12:13]
	v_add_f64_e64 v[16:17], v[12:13], -v[16:17]
	v_add_f64_e64 v[22:23], v[22:23], -v[24:25]
	s_delay_alu instid0(VALU_DEP_3) | instskip(NEXT) | instid1(VALU_DEP_3)
	v_add_f64_e64 v[18:19], v[14:15], -v[10:11]
	v_add_f64_e64 v[8:9], v[8:9], -v[16:17]
	s_delay_alu instid0(VALU_DEP_2) | instskip(SKIP_1) | instid1(VALU_DEP_3)
	v_add_f64_e64 v[26:27], v[14:15], -v[18:19]
	v_add_f64_e64 v[12:13], v[12:13], -v[18:19]
	v_add_f64_e32 v[16:17], v[22:23], v[8:9]
	s_delay_alu instid0(VALU_DEP_3) | instskip(NEXT) | instid1(VALU_DEP_1)
	v_add_f64_e64 v[10:11], v[10:11], -v[26:27]
	v_add_f64_e32 v[10:11], v[12:13], v[10:11]
	s_delay_alu instid0(VALU_DEP_3) | instskip(NEXT) | instid1(VALU_DEP_2)
	v_add_f64_e64 v[12:13], v[16:17], -v[22:23]
	v_add_f64_e32 v[10:11], v[16:17], v[10:11]
	s_delay_alu instid0(VALU_DEP_2) | instskip(SKIP_1) | instid1(VALU_DEP_3)
	v_add_f64_e64 v[16:17], v[16:17], -v[12:13]
	v_add_f64_e64 v[8:9], v[8:9], -v[12:13]
	v_add_f64_e32 v[18:19], v[14:15], v[10:11]
	s_delay_alu instid0(VALU_DEP_3) | instskip(SKIP_1) | instid1(VALU_DEP_3)
	v_add_f64_e64 v[12:13], v[22:23], -v[16:17]
	v_mov_b64_e32 v[22:23], 0x3ec71dee623fde64
	v_add_f64_e64 v[14:15], v[18:19], -v[14:15]
	s_delay_alu instid0(VALU_DEP_3) | instskip(NEXT) | instid1(VALU_DEP_2)
	v_add_f64_e32 v[8:9], v[8:9], v[12:13]
	v_add_f64_e64 v[10:11], v[10:11], -v[14:15]
	s_delay_alu instid0(VALU_DEP_1) | instskip(NEXT) | instid1(VALU_DEP_1)
	v_add_f64_e32 v[8:9], v[8:9], v[10:11]
	v_add_f64_e32 v[10:11], v[18:19], v[8:9]
	s_delay_alu instid0(VALU_DEP_1) | instskip(SKIP_1) | instid1(VALU_DEP_2)
	v_add_f64_e64 v[12:13], v[10:11], -v[18:19]
	v_mul_f64_e32 v[14:15], v[4:5], v[10:11]
	v_add_f64_e64 v[8:9], v[8:9], -v[12:13]
	s_delay_alu instid0(VALU_DEP_2) | instskip(SKIP_1) | instid1(VALU_DEP_2)
	v_fma_f64 v[10:11], v[4:5], v[10:11], -v[14:15]
	v_cmp_class_f64_e64 vcc_lo, v[14:15], 0x204
	v_fmac_f64_e32 v[10:11], v[4:5], v[8:9]
	s_delay_alu instid0(VALU_DEP_1) | instskip(NEXT) | instid1(VALU_DEP_1)
	v_add_f64_e32 v[8:9], v[14:15], v[10:11]
	v_dual_cndmask_b32 v13, v9, v15 :: v_dual_cndmask_b32 v12, v8, v14
	v_add_f64_e64 v[8:9], v[8:9], -v[14:15]
	s_delay_alu instid0(VALU_DEP_2)
	v_mul_f64_e32 v[16:17], 0x3ff71547652b82fe, v[12:13]
	v_cmp_nlt_f64_e64 s2, 0x40900000, v[12:13]
	v_cmp_neq_f64_e64 vcc_lo, 0x7ff00000, |v[12:13]|
	v_cmp_ngt_f64_e64 s3, 0xc090cc00, v[12:13]
	v_add_f64_e64 v[8:9], v[10:11], -v[8:9]
	v_trunc_f64_e32 v[10:11], v[4:5]
	v_rndne_f64_e32 v[16:17], v[16:17]
	s_delay_alu instid0(VALU_DEP_3) | instskip(SKIP_1) | instid1(VALU_DEP_2)
	v_dual_cndmask_b32 v9, 0, v9 :: v_dual_cndmask_b32 v8, 0, v8
	s_and_b32 vcc_lo, s3, s2
	v_fmamk_f64 v[18:19], v[16:17], 0xbfe62e42fefa39ef, v[12:13]
	v_cvt_i32_f64_e32 v6, v[16:17]
	s_delay_alu instid0(VALU_DEP_2) | instskip(NEXT) | instid1(VALU_DEP_1)
	v_fmac_f64_e32 v[18:19], 0xbc7abc9e3b39803f, v[16:17]
	v_fmac_f64_e32 v[20:21], 0x3e5ade156a5dcb37, v[18:19]
	s_delay_alu instid0(VALU_DEP_1) | instskip(SKIP_1) | instid1(VALU_DEP_1)
	v_fmac_f64_e32 v[22:23], v[18:19], v[20:21]
	v_mov_b64_e32 v[20:21], 0x3efa01997c89e6b0
	v_fmac_f64_e32 v[20:21], v[18:19], v[22:23]
	v_mov_b64_e32 v[22:23], 0x3f2a01a014761f6e
	s_delay_alu instid0(VALU_DEP_1) | instskip(SKIP_1) | instid1(VALU_DEP_1)
	v_fmac_f64_e32 v[22:23], v[18:19], v[20:21]
	v_mov_b64_e32 v[20:21], 0x3f56c16c1852b7b0
	v_fmac_f64_e32 v[20:21], v[18:19], v[22:23]
	v_mov_b64_e32 v[22:23], 0x3f81111111122322
	;; [unrolled: 5-line block ×3, first 2 shown]
	s_delay_alu instid0(VALU_DEP_1) | instskip(SKIP_1) | instid1(VALU_DEP_1)
	v_fmac_f64_e32 v[22:23], v[18:19], v[20:21]
	v_mov_b64_e32 v[20:21], 0x3fe000000000000b
	v_fmac_f64_e32 v[20:21], v[18:19], v[22:23]
	s_delay_alu instid0(VALU_DEP_1) | instskip(NEXT) | instid1(VALU_DEP_1)
	v_fma_f64 v[20:21], v[18:19], v[20:21], 1.0
	v_fma_f64 v[16:17], v[18:19], v[20:21], 1.0
	s_delay_alu instid0(VALU_DEP_1) | instskip(SKIP_1) | instid1(VALU_DEP_2)
	v_ldexp_f64 v[14:15], v[16:17], v6
	v_mul_f64_e32 v[16:17], 0.5, v[4:5]
	v_cndmask_b32_e64 v6, 0x7ff00000, v15, s2
	s_delay_alu instid0(VALU_DEP_2) | instskip(NEXT) | instid1(VALU_DEP_4)
	v_trunc_f64_e32 v[12:13], v[16:17]
	v_cndmask_b32_e32 v14, 0, v14, vcc_lo
	v_cmp_eq_f64_e32 vcc_lo, v[10:11], v[4:5]
	s_delay_alu instid0(VALU_DEP_4) | instskip(NEXT) | instid1(VALU_DEP_1)
	v_cndmask_b32_e64 v15, 0, v6, s3
	v_fma_f64 v[8:9], v[14:15], v[8:9], v[14:15]
	v_cmp_class_f64_e64 s3, v[14:15], 0x204
	v_cmp_neq_f64_e64 s2, v[12:13], v[16:17]
	s_delay_alu instid0(VALU_DEP_2) | instskip(SKIP_1) | instid1(VALU_DEP_2)
	v_dual_cndmask_b32 v6, v8, v14, s3 :: v_dual_cndmask_b32 v8, v9, v15, s3
	v_cmp_neq_f64_e64 s3, v[4:5], |v[4:5]|
	v_cndmask_b32_e32 v10, 0, v6, vcc_lo
	s_and_b32 s6, vcc_lo, s2
	s_delay_alu instid0(SALU_CYCLE_1) | instskip(SKIP_1) | instid1(SALU_CYCLE_1)
	s_and_b32 s2, s6, exec_lo
	s_cselect_b32 s2, s5, 0x3ff00000
	v_bfi_b32 v8, 0x7fffffff, v8, s2
	v_cmp_gt_f64_e64 s2, 0, v[4:5]
	s_delay_alu instid0(VALU_DEP_2) | instskip(SKIP_2) | instid1(SALU_CYCLE_1)
	v_cndmask_b32_e32 v9, 0x7ff80000, v8, vcc_lo
	v_cmp_lt_f64_e64 vcc_lo, s[4:5], 0
	s_xor_b32 s3, s3, s7
	s_and_b32 s3, s3, exec_lo
	s_cselect_b32 s3, 0, 0x7ff00000
	s_and_b32 s7, s22, exec_lo
	v_cmp_class_f64_e64 s7, v[4:5], 0x204
	s_cselect_b32 s3, s3, 0x3ff00000
	s_xor_b32 s2, s2, s23
	v_dual_cndmask_b32 v8, v8, v9, vcc_lo :: v_dual_cndmask_b32 v6, v6, v10, vcc_lo
	s_or_b32 vcc_lo, s23, s28
	s_and_b32 s2, s2, exec_lo
	s_cselect_b32 s2, 0, 0x7ff00000
	s_delay_alu instid0(VALU_DEP_1) | instskip(SKIP_2) | instid1(SALU_CYCLE_1)
	v_cndmask_b32_e64 v8, v8, s3, s7
	s_and_b32 s3, s6, exec_lo
	s_cselect_b32 s3, s5, 0
	v_mov_b32_e32 v9, s3
	s_delay_alu instid0(VALU_DEP_1) | instskip(SKIP_1) | instid1(VALU_DEP_1)
	v_bfi_b32 v9, 0x7fffffff, s2, v9
	s_or_b32 s2, vcc_lo, s7
	v_cndmask_b32_e32 v9, v8, v9, vcc_lo
	v_cndmask_b32_e64 v8, v6, 0, s2
	v_cmp_o_f64_e32 vcc_lo, s[4:5], v[4:5]
	s_mul_u64 s[4:5], s[20:21], 3
	v_cndmask_b32_e64 v6, v1, 0, s25
	s_delay_alu instid0(VALU_DEP_3) | instskip(NEXT) | instid1(VALU_DEP_2)
	v_add_f64_e64 v[8:9], -v[8:9], 1.0
	v_add_f64_e64 v[6:7], -v[6:7], 1.0
	s_delay_alu instid0(VALU_DEP_2) | instskip(NEXT) | instid1(VALU_DEP_3)
	v_cndmask_b32_e32 v5, 0x7ff80000, v9, vcc_lo
	v_cndmask_b32_e32 v4, 0, v8, vcc_lo
	s_delay_alu instid0(VALU_DEP_1)
	v_cmp_gt_f64_e32 vcc_lo, 0x10000000, v[4:5]
	s_and_b32 s2, vcc_lo, exec_lo
	s_cselect_b32 s2, 0x100, 0
	v_cmp_o_f64_e32 vcc_lo, s[14:15], v[2:3]
	v_ldexp_f64 v[4:5], v[4:5], s2
	s_add_nc_u64 s[2:3], s[0:1], s[20:21]
	s_delay_alu instid0(SALU_CYCLE_1)
	s_add_nc_u64 s[2:3], s[2:3], s[4:5]
	s_clause 0x3
	s_load_b32 s34, s[2:3], 0x800
	s_load_b64 s[4:5], s[0:1], s24 offset:0x0 scale_offset
	s_load_b64 s[20:21], s[0:1], s24 offset:0x120 scale_offset
	;; [unrolled: 1-line block ×3, first 2 shown]
	s_wait_xcnt 0x0
	s_cselect_b32 s2, 0xffffff80, 0
	s_load_b64 s[24:25], s[0:1], s24 offset:0x360 scale_offset
	s_wait_kmcnt 0x0
	s_ashr_i32 s35, s34, 31
	s_delay_alu instid0(SALU_CYCLE_1)
	s_lshl_b64 s[6:7], s[34:35], 18
	s_lshl_b64 s[14:15], s[34:35], 17
	s_add_nc_u64 s[28:29], s[4:5], s[6:7]
	s_add_nc_u64 s[30:31], s[20:21], s[6:7]
	s_lshl_b64 s[38:39], s[34:35], 16
	s_or_b32 s3, s28, s30
	s_add_nc_u64 s[34:35], s[22:23], s[14:15]
	s_and_b32 s3, s3, 15
	s_delay_alu instid0(VALU_DEP_1) | instskip(SKIP_3) | instid1(SALU_CYCLE_1)
	v_rsq_f64_e32 v[8:9], v[4:5]
	s_cmp_lg_u32 s3, 0
	s_cselect_b32 s3, -1, 0
	s_and_b64 s[36:37], s[34:35], 7
	s_cmp_lg_u64 s[36:37], 0
	s_add_nc_u64 s[36:37], s[24:25], s[14:15]
	s_cselect_b32 s44, -1, 0
	s_and_b32 s40, s36, 7
	s_and_b64 s[42:43], s[26:27], 3
	s_or_b32 s3, s3, s44
	s_or_b64 s[40:41], s[40:41], s[42:43]
	s_sub_nc_u64 s[26:27], s[26:27], s[38:39]
	s_cmp_lg_u64 s[40:41], 0
	s_cselect_b32 s40, -1, 0
	s_delay_alu instid0(SALU_CYCLE_1) | instskip(SKIP_1) | instid1(TRANS32_DEP_1)
	s_or_b32 s3, s3, s40
	v_nop
	v_mul_f64_e32 v[10:11], v[4:5], v[8:9]
	v_mul_f64_e32 v[8:9], 0.5, v[8:9]
	s_delay_alu instid0(VALU_DEP_1) | instskip(NEXT) | instid1(VALU_DEP_1)
	v_fma_f64 v[12:13], -v[8:9], v[10:11], 0.5
	v_fmac_f64_e32 v[10:11], v[10:11], v[12:13]
	v_fmac_f64_e32 v[8:9], v[8:9], v[12:13]
	s_delay_alu instid0(VALU_DEP_2) | instskip(NEXT) | instid1(VALU_DEP_1)
	v_fma_f64 v[12:13], -v[10:11], v[10:11], v[4:5]
	v_fmac_f64_e32 v[10:11], v[12:13], v[8:9]
	s_delay_alu instid0(VALU_DEP_1) | instskip(NEXT) | instid1(VALU_DEP_1)
	v_fma_f64 v[12:13], -v[10:11], v[10:11], v[4:5]
	v_fmac_f64_e32 v[10:11], v[12:13], v[8:9]
	v_cndmask_b32_e32 v13, 0x7ff80000, v7, vcc_lo
	v_cndmask_b32_e32 v12, 0, v6, vcc_lo
	s_and_not1_b32 vcc_lo, exec_lo, s3
	s_delay_alu instid0(VALU_DEP_3) | instskip(SKIP_1) | instid1(VALU_DEP_1)
	v_ldexp_f64 v[2:3], v[10:11], s2
	v_cmp_class_f64_e64 s2, v[4:5], 0x260
	v_dual_cndmask_b32 v11, v3, v5, s2 :: v_dual_cndmask_b32 v10, v2, v4, s2
	s_mov_b32 s2, -1
	s_cbranch_vccz .LBB0_22
; %bb.7:
	v_min_i64 v[14:15], 0x10000, s[26:27]
	v_dual_mov_b32 v17, 0 :: v_dual_lshlrev_b32 v16, 2, v0
	s_mov_b32 s44, exec_lo
	s_delay_alu instid0(VALU_DEP_1)
	v_cmpx_lt_i64_e64 v[16:17], v[14:15]
	s_cbranch_execz .LBB0_21
; %bb.8:
	v_cvt_f32_f64_e32 v4, v[12:13]
	v_cvt_f32_f64_e32 v7, s[16:17]
	;; [unrolled: 1-line block ×6, first 2 shown]
	s_load_b32 s2, s[0:1], 0xd64
	v_mov_b64_e32 v[2:3], v[16:17]
	s_cmp_lg_u64 s[12:13], 0
	s_mov_b32 s39, 0
	s_cselect_b32 s45, -1, 0
	s_mov_b32 s41, s39
	s_mov_b32 s43, s39
	s_mov_b32 s46, s39
	v_dual_mov_b32 v21, s15 :: v_dual_lshlrev_b32 v16, 4, v0
	s_wait_kmcnt 0x0
	s_and_b32 s38, s2, 0xffff
	s_delay_alu instid0(SALU_CYCLE_1) | instskip(SKIP_4) | instid1(VALU_DEP_3)
	s_lshl_b32 s40, s38, 3
	s_lshl_b32 s42, s38, 4
	v_div_scale_f32 v1, null, v4, v4, v42
	v_div_scale_f32 v8, vcc_lo, v42, v4, v42
	v_cmp_neq_f32_e64 s2, 0, v7
	v_rcp_f32_e32 v5, v1
	v_xor_b32_e32 v6, 0x80000000, v1
	v_mul_f32_e32 v40, v42, v7
	s_delay_alu instid0(TRANS32_DEP_1) | instid1(VALU_DEP_2)
	v_fma_f32 v1, v6, v5, 1.0
	s_delay_alu instid0(VALU_DEP_1) | instskip(NEXT) | instid1(VALU_DEP_1)
	v_fmac_f32_e32 v5, v1, v5
	v_dual_mov_b32 v1, v17 :: v_dual_mul_f32 v9, v8, v5
	s_delay_alu instid0(VALU_DEP_1) | instskip(NEXT) | instid1(VALU_DEP_2)
	v_mov_b64_e32 v[22:23], v[0:1]
	v_fma_f32 v20, v6, v9, v8
	s_delay_alu instid0(VALU_DEP_1) | instskip(SKIP_1) | instid1(VALU_DEP_2)
	v_fmac_f32_e32 v9, v20, v5
	v_lshl_or_b32 v20, v0, 3, s14
	v_fmac_f32_e32 v8, v6, v9
	s_delay_alu instid0(VALU_DEP_1) | instskip(NEXT) | instid1(VALU_DEP_1)
	v_div_fmas_f32 v5, v8, v5, v9
	v_div_fixup_f32 v41, v5, v4, v42
	s_branch .LBB0_10
.LBB0_9:                                ;   in Loop: Header=BB0_10 Depth=1
	v_add_nc_u64_e32 v[22:23], s[38:39], v[22:23]
	v_add_nc_u64_e32 v[20:21], s[40:41], v[20:21]
	s_add_nc_u64 s[28:29], s[28:29], s[42:43]
	s_add_nc_u64 s[30:31], s[30:31], s[42:43]
	s_wait_xcnt 0x0
	s_delay_alu instid0(VALU_DEP_2) | instskip(NEXT) | instid1(VALU_DEP_1)
	v_lshlrev_b64_e32 v[2:3], 2, v[22:23]
	v_cmp_ge_i64_e32 vcc_lo, v[2:3], v[14:15]
	s_or_b32 s46, vcc_lo, s46
	s_delay_alu instid0(SALU_CYCLE_1)
	s_and_not1_b32 exec_lo, exec_lo, s46
	s_cbranch_execz .LBB0_21
.LBB0_10:                               ; =>This Inner Loop Header: Depth=1
	v_lshlrev_b64_e32 v[2:3], 1, v[2:3]
	v_add_nc_u64_e32 v[26:27], s[28:29], v[16:17]
	v_add_nc_u64_e32 v[24:25], s[30:31], v[16:17]
	s_and_not1_b32 vcc_lo, exec_lo, s45
	s_delay_alu instid0(VALU_DEP_3)
	v_add_nc_u64_e32 v[28:29], s[34:35], v[2:3]
	v_add_nc_u64_e32 v[30:31], s[36:37], v[2:3]
	global_load_b128 v[6:9], v[26:27], off
	global_load_b128 v[2:5], v[24:25], off
	global_load_b64 v[32:33], v[28:29], off
	global_load_b64 v[34:35], v[30:31], off
	s_cbranch_vccnz .LBB0_12
; %bb.11:                               ;   in Loop: Header=BB0_10 Depth=1
	global_load_b32 v1, v17, s[12:13]
	s_wait_loadcnt 0x0
	s_wait_xcnt 0x2
	v_div_scale_f32 v28, null, v1, v1, v2
	s_delay_alu instid0(VALU_DEP_1) | instskip(SKIP_2) | instid1(TRANS32_DEP_1)
	v_rcp_f32_e32 v29, v28
	s_wait_xcnt 0x1
	v_nop
	v_fma_f32 v30, -v28, v29, 1.0
	s_delay_alu instid0(VALU_DEP_1) | instskip(SKIP_1) | instid1(VALU_DEP_1)
	v_fmac_f32_e32 v29, v30, v29
	v_div_scale_f32 v30, vcc_lo, v2, v1, v2
	v_mul_f32_e32 v31, v30, v29
	s_delay_alu instid0(VALU_DEP_1) | instskip(NEXT) | instid1(VALU_DEP_1)
	v_fma_f32 v36, -v28, v31, v30
	v_fmac_f32_e32 v31, v36, v29
	s_delay_alu instid0(VALU_DEP_1) | instskip(NEXT) | instid1(VALU_DEP_1)
	v_fma_f32 v28, -v28, v31, v30
	v_div_fmas_f32 v28, v28, v29, v31
	s_delay_alu instid0(VALU_DEP_1)
	v_div_fixup_f32 v2, v28, v1, v2
.LBB0_12:                               ;   in Loop: Header=BB0_10 Depth=1
	s_and_not1_b32 vcc_lo, exec_lo, s45
	s_cbranch_vccnz .LBB0_14
; %bb.13:                               ;   in Loop: Header=BB0_10 Depth=1
	global_load_b32 v1, v17, s[12:13]
	s_wait_loadcnt 0x0
	s_wait_xcnt 0x2
	v_div_scale_f32 v28, null, v1, v1, v3
	s_delay_alu instid0(VALU_DEP_1) | instskip(SKIP_2) | instid1(TRANS32_DEP_1)
	v_rcp_f32_e32 v29, v28
	s_wait_xcnt 0x1
	v_nop
	v_fma_f32 v30, -v28, v29, 1.0
	s_delay_alu instid0(VALU_DEP_1) | instskip(SKIP_1) | instid1(VALU_DEP_1)
	v_fmac_f32_e32 v29, v30, v29
	v_div_scale_f32 v30, vcc_lo, v3, v1, v3
	v_mul_f32_e32 v31, v30, v29
	s_delay_alu instid0(VALU_DEP_1) | instskip(NEXT) | instid1(VALU_DEP_1)
	v_fma_f32 v36, -v28, v31, v30
	v_fmac_f32_e32 v31, v36, v29
	s_delay_alu instid0(VALU_DEP_1) | instskip(NEXT) | instid1(VALU_DEP_1)
	v_fma_f32 v28, -v28, v31, v30
	v_div_fmas_f32 v28, v28, v29, v31
	s_delay_alu instid0(VALU_DEP_1)
	v_div_fixup_f32 v3, v28, v1, v3
.LBB0_14:                               ;   in Loop: Header=BB0_10 Depth=1
	s_and_not1_b32 vcc_lo, exec_lo, s45
	s_cbranch_vccnz .LBB0_16
; %bb.15:                               ;   in Loop: Header=BB0_10 Depth=1
	global_load_b32 v1, v17, s[12:13]
	s_wait_loadcnt 0x0
	s_wait_xcnt 0x2
	v_div_scale_f32 v28, null, v1, v1, v4
	s_delay_alu instid0(VALU_DEP_1) | instskip(SKIP_2) | instid1(TRANS32_DEP_1)
	v_rcp_f32_e32 v29, v28
	s_wait_xcnt 0x1
	v_nop
	v_fma_f32 v30, -v28, v29, 1.0
	s_delay_alu instid0(VALU_DEP_1) | instskip(SKIP_1) | instid1(VALU_DEP_1)
	v_fmac_f32_e32 v29, v30, v29
	v_div_scale_f32 v30, vcc_lo, v4, v1, v4
	v_mul_f32_e32 v31, v30, v29
	s_delay_alu instid0(VALU_DEP_1) | instskip(NEXT) | instid1(VALU_DEP_1)
	v_fma_f32 v36, -v28, v31, v30
	v_fmac_f32_e32 v31, v36, v29
	s_delay_alu instid0(VALU_DEP_1) | instskip(NEXT) | instid1(VALU_DEP_1)
	v_fma_f32 v28, -v28, v31, v30
	v_div_fmas_f32 v28, v28, v29, v31
	s_delay_alu instid0(VALU_DEP_1)
	v_div_fixup_f32 v4, v28, v1, v4
.LBB0_16:                               ;   in Loop: Header=BB0_10 Depth=1
	s_and_not1_b32 vcc_lo, exec_lo, s45
	s_cbranch_vccnz .LBB0_18
; %bb.17:                               ;   in Loop: Header=BB0_10 Depth=1
	global_load_b32 v1, v17, s[12:13]
	s_wait_loadcnt 0x0
	s_wait_xcnt 0x2
	v_div_scale_f32 v28, null, v1, v1, v5
	s_delay_alu instid0(VALU_DEP_1) | instskip(SKIP_2) | instid1(TRANS32_DEP_1)
	v_rcp_f32_e32 v29, v28
	s_wait_xcnt 0x1
	v_nop
	v_fma_f32 v30, -v28, v29, 1.0
	s_delay_alu instid0(VALU_DEP_1) | instskip(SKIP_1) | instid1(VALU_DEP_1)
	v_fmac_f32_e32 v29, v30, v29
	v_div_scale_f32 v30, vcc_lo, v5, v1, v5
	v_mul_f32_e32 v31, v30, v29
	s_delay_alu instid0(VALU_DEP_1) | instskip(NEXT) | instid1(VALU_DEP_1)
	v_fma_f32 v36, -v28, v31, v30
	v_fmac_f32_e32 v31, v36, v29
	s_delay_alu instid0(VALU_DEP_1) | instskip(NEXT) | instid1(VALU_DEP_1)
	v_fma_f32 v28, -v28, v31, v30
	v_div_fmas_f32 v28, v28, v29, v31
	s_delay_alu instid0(VALU_DEP_1)
	v_div_fixup_f32 v5, v28, v1, v5
.LBB0_18:                               ;   in Loop: Header=BB0_10 Depth=1
	s_wait_loadcnt 0x2
	s_wait_xcnt 0x0
	v_cndmask_b32_e64 v31, v4, -v4, s33
	s_wait_loadcnt 0x1
	v_dual_fma_f32 v1, -v40, v8, v8 :: v_dual_lshlrev_b32 v29, 16, v33
	s_wait_loadcnt 0x0
	v_lshlrev_b32_e32 v28, 16, v35
	v_and_b32_e32 v33, 0xffff0000, v33
	s_delay_alu instid0(VALU_DEP_3) | instskip(NEXT) | instid1(VALU_DEP_1)
	v_dual_mul_f32 v30, v31, v31 :: v_dual_cndmask_b32 v1, v8, v1, s2
	v_pk_fma_f32 v[30:31], v[18:19], v[30:31], v[30:31] neg_lo:[1,0,0] neg_hi:[1,0,0]
	s_delay_alu instid0(VALU_DEP_1) | instskip(NEXT) | instid1(VALU_DEP_1)
	v_pk_fma_f32 v[28:29], v[18:19], v[28:29], v[30:31]
	v_cmp_gt_f32_e32 vcc_lo, 0xf800000, v28
	v_mul_f32_e32 v8, 0x4f800000, v28
	s_delay_alu instid0(VALU_DEP_1) | instskip(NEXT) | instid1(VALU_DEP_1)
	v_cndmask_b32_e32 v8, v28, v8, vcc_lo
	v_sqrt_f32_e32 v30, v8
	v_nop
	s_delay_alu instid0(TRANS32_DEP_1) | instskip(NEXT) | instid1(VALU_DEP_1)
	v_add_nc_u32_e32 v31, -1, v30
	v_fma_f32 v36, -v31, v30, v8
	s_delay_alu instid0(VALU_DEP_1) | instskip(NEXT) | instid1(VALU_DEP_1)
	v_cmp_ge_f32_e64 s3, 0, v36
	v_dual_add_nc_u32 v36, 1, v30 :: v_dual_cndmask_b32 v31, v30, v31, s3
	s_delay_alu instid0(VALU_DEP_1) | instskip(NEXT) | instid1(VALU_DEP_1)
	v_fma_f32 v30, -v36, v30, v8
	v_cmp_lt_f32_e64 s3, 0, v30
	s_delay_alu instid0(VALU_DEP_1) | instskip(NEXT) | instid1(VALU_DEP_1)
	v_cndmask_b32_e64 v30, v31, v36, s3
	v_mul_f32_e32 v31, 0x37800000, v30
	s_delay_alu instid0(VALU_DEP_1) | instskip(SKIP_1) | instid1(VALU_DEP_2)
	v_cndmask_b32_e32 v30, v30, v31, vcc_lo
	v_cmp_class_f32_e64 vcc_lo, v8, 0x260
	v_cndmask_b32_e32 v8, v30, v8, vcc_lo
	s_delay_alu instid0(VALU_DEP_1) | instskip(NEXT) | instid1(VALU_DEP_1)
	v_div_scale_f32 v30, null, v39, v39, v8
	v_rcp_f32_e32 v31, v30
	v_nop
	s_delay_alu instid0(TRANS32_DEP_1) | instskip(NEXT) | instid1(VALU_DEP_1)
	v_fma_f32 v36, -v30, v31, 1.0
	v_fmac_f32_e32 v31, v36, v31
	v_div_scale_f32 v36, vcc_lo, v8, v39, v8
	s_delay_alu instid0(VALU_DEP_1) | instskip(NEXT) | instid1(VALU_DEP_1)
	v_mul_f32_e32 v37, v36, v31
	v_fma_f32 v43, -v30, v37, v36
	s_delay_alu instid0(VALU_DEP_1) | instskip(NEXT) | instid1(VALU_DEP_1)
	v_fmac_f32_e32 v37, v43, v31
	v_fma_f32 v30, -v30, v37, v36
	s_delay_alu instid0(VALU_DEP_1) | instskip(NEXT) | instid1(VALU_DEP_1)
	v_div_fmas_f32 v30, v30, v31, v37
	v_div_fixup_f32 v8, v30, v39, v8
	s_delay_alu instid0(VALU_DEP_1) | instskip(NEXT) | instid1(VALU_DEP_1)
	v_dual_mul_f32 v30, v41, v29 :: v_dual_add_f32 v8, v8, v38
	v_div_scale_f32 v31, null, v8, v8, v30
	s_delay_alu instid0(VALU_DEP_1) | instskip(SKIP_1) | instid1(TRANS32_DEP_1)
	v_rcp_f32_e32 v36, v31
	v_nop
	v_fma_f32 v37, -v31, v36, 1.0
	s_delay_alu instid0(VALU_DEP_1) | instskip(SKIP_1) | instid1(VALU_DEP_1)
	v_fmac_f32_e32 v36, v37, v36
	v_div_scale_f32 v37, vcc_lo, v30, v8, v30
	v_mul_f32_e32 v43, v37, v36
	s_delay_alu instid0(VALU_DEP_1) | instskip(NEXT) | instid1(VALU_DEP_1)
	v_fma_f32 v44, -v31, v43, v37
	v_fmac_f32_e32 v43, v44, v36
	s_delay_alu instid0(VALU_DEP_1) | instskip(SKIP_1) | instid1(VALU_DEP_2)
	v_fma_f32 v31, -v31, v43, v37
	v_cndmask_b32_e64 v37, v3, -v3, s33
	v_div_fmas_f32 v31, v31, v36, v43
	s_delay_alu instid0(VALU_DEP_2) | instskip(NEXT) | instid1(VALU_DEP_2)
	v_mul_f32_e32 v36, v37, v37
	v_div_fixup_f32 v8, v31, v8, v30
	v_and_b32_e32 v31, 0xffff0000, v32
	v_and_b32_e32 v30, 0xffff0000, v34
	s_delay_alu instid0(VALU_DEP_4) | instskip(NEXT) | instid1(VALU_DEP_4)
	v_pk_fma_f32 v[36:37], v[18:19], v[36:37], v[36:37] neg_lo:[1,0,0] neg_hi:[1,0,0]
	v_dual_sub_f32 v8, v1, v8 :: v_dual_fma_f32 v1, -v40, v7, v7
	s_delay_alu instid0(VALU_DEP_2) | instskip(NEXT) | instid1(VALU_DEP_2)
	v_pk_fma_f32 v[30:31], v[18:19], v[30:31], v[36:37]
	v_cndmask_b32_e64 v1, v7, v1, s2
	s_delay_alu instid0(VALU_DEP_2) | instskip(SKIP_1) | instid1(VALU_DEP_1)
	v_cmp_gt_f32_e32 vcc_lo, 0xf800000, v30
	v_mul_f32_e32 v7, 0x4f800000, v30
	v_cndmask_b32_e32 v7, v30, v7, vcc_lo
	s_delay_alu instid0(VALU_DEP_1) | instskip(SKIP_1) | instid1(TRANS32_DEP_1)
	v_sqrt_f32_e32 v36, v7
	v_nop
	v_add_nc_u32_e32 v37, -1, v36
	s_delay_alu instid0(VALU_DEP_1) | instskip(NEXT) | instid1(VALU_DEP_1)
	v_fma_f32 v43, -v37, v36, v7
	v_cmp_ge_f32_e64 s3, 0, v43
	s_delay_alu instid0(VALU_DEP_1) | instskip(NEXT) | instid1(VALU_DEP_1)
	v_dual_add_nc_u32 v43, 1, v36 :: v_dual_cndmask_b32 v37, v36, v37, s3
	v_fma_f32 v36, -v43, v36, v7
	s_delay_alu instid0(VALU_DEP_1) | instskip(NEXT) | instid1(VALU_DEP_1)
	v_cmp_lt_f32_e64 s3, 0, v36
	v_cndmask_b32_e64 v36, v37, v43, s3
	s_delay_alu instid0(VALU_DEP_1) | instskip(NEXT) | instid1(VALU_DEP_1)
	v_mul_f32_e32 v37, 0x37800000, v36
	v_cndmask_b32_e32 v36, v36, v37, vcc_lo
	v_cmp_class_f32_e64 vcc_lo, v7, 0x260
	s_delay_alu instid0(VALU_DEP_2) | instskip(NEXT) | instid1(VALU_DEP_1)
	v_cndmask_b32_e32 v7, v36, v7, vcc_lo
	v_div_scale_f32 v36, null, v39, v39, v7
	s_delay_alu instid0(VALU_DEP_1) | instskip(SKIP_1) | instid1(TRANS32_DEP_1)
	v_rcp_f32_e32 v37, v36
	v_nop
	v_fma_f32 v43, -v36, v37, 1.0
	s_delay_alu instid0(VALU_DEP_1) | instskip(SKIP_1) | instid1(VALU_DEP_1)
	v_fmac_f32_e32 v37, v43, v37
	v_div_scale_f32 v43, vcc_lo, v7, v39, v7
	v_mul_f32_e32 v44, v43, v37
	s_delay_alu instid0(VALU_DEP_1) | instskip(NEXT) | instid1(VALU_DEP_1)
	v_fma_f32 v45, -v36, v44, v43
	v_fmac_f32_e32 v44, v45, v37
	s_delay_alu instid0(VALU_DEP_1) | instskip(NEXT) | instid1(VALU_DEP_1)
	v_fma_f32 v36, -v36, v44, v43
	v_div_fmas_f32 v36, v36, v37, v44
	s_delay_alu instid0(VALU_DEP_1) | instskip(NEXT) | instid1(VALU_DEP_1)
	v_div_fixup_f32 v7, v36, v39, v7
	v_dual_mul_f32 v36, v41, v31 :: v_dual_add_f32 v7, v7, v38
	s_delay_alu instid0(VALU_DEP_1) | instskip(NEXT) | instid1(VALU_DEP_1)
	v_div_scale_f32 v37, null, v7, v7, v36
	v_rcp_f32_e32 v43, v37
	v_nop
	s_delay_alu instid0(TRANS32_DEP_1) | instskip(NEXT) | instid1(VALU_DEP_1)
	v_fma_f32 v44, -v37, v43, 1.0
	v_fmac_f32_e32 v43, v44, v43
	v_div_scale_f32 v44, vcc_lo, v36, v7, v36
	s_delay_alu instid0(VALU_DEP_1) | instskip(NEXT) | instid1(VALU_DEP_1)
	v_mul_f32_e32 v45, v44, v43
	v_fma_f32 v46, -v37, v45, v44
	s_delay_alu instid0(VALU_DEP_1) | instskip(NEXT) | instid1(VALU_DEP_1)
	v_fmac_f32_e32 v45, v46, v43
	v_fma_f32 v37, -v37, v45, v44
	s_delay_alu instid0(VALU_DEP_1) | instskip(SKIP_1) | instid1(VALU_DEP_2)
	v_div_fmas_f32 v37, v37, v43, v45
	v_cndmask_b32_e64 v45, v2, -v2, s33
	v_div_fixup_f32 v7, v37, v7, v36
	s_delay_alu instid0(VALU_DEP_2) | instskip(NEXT) | instid1(VALU_DEP_2)
	v_dual_mul_f32 v44, v45, v45 :: v_dual_lshlrev_b32 v37, 16, v32
	v_dual_sub_f32 v7, v1, v7 :: v_dual_lshlrev_b32 v36, 16, v34
	v_fma_f32 v1, -v40, v6, v6
	s_delay_alu instid0(VALU_DEP_3) | instskip(NEXT) | instid1(VALU_DEP_1)
	v_pk_fma_f32 v[44:45], v[18:19], v[44:45], v[44:45] neg_lo:[1,0,0] neg_hi:[1,0,0]
	v_pk_fma_f32 v[36:37], v[18:19], v[36:37], v[44:45]
	s_delay_alu instid0(VALU_DEP_1) | instskip(NEXT) | instid1(VALU_DEP_4)
	v_cmp_gt_f32_e32 vcc_lo, 0xf800000, v36
	v_cndmask_b32_e64 v1, v6, v1, s2
	v_mul_f32_e32 v6, 0x4f800000, v36
	s_delay_alu instid0(VALU_DEP_1) | instskip(NEXT) | instid1(VALU_DEP_1)
	v_cndmask_b32_e32 v6, v36, v6, vcc_lo
	v_sqrt_f32_e32 v32, v6
	v_nop
	s_delay_alu instid0(TRANS32_DEP_1) | instskip(NEXT) | instid1(VALU_DEP_1)
	v_add_nc_u32_e32 v34, -1, v32
	v_fma_f32 v43, -v34, v32, v6
	s_delay_alu instid0(VALU_DEP_1) | instskip(NEXT) | instid1(VALU_DEP_1)
	v_cmp_ge_f32_e64 s3, 0, v43
	v_dual_add_nc_u32 v43, 1, v32 :: v_dual_cndmask_b32 v34, v32, v34, s3
	s_delay_alu instid0(VALU_DEP_1) | instskip(NEXT) | instid1(VALU_DEP_1)
	v_fma_f32 v32, -v43, v32, v6
	v_cmp_lt_f32_e64 s3, 0, v32
	s_delay_alu instid0(VALU_DEP_1) | instskip(NEXT) | instid1(VALU_DEP_1)
	v_cndmask_b32_e64 v32, v34, v43, s3
	v_mul_f32_e32 v34, 0x37800000, v32
	s_delay_alu instid0(VALU_DEP_1) | instskip(SKIP_1) | instid1(VALU_DEP_2)
	v_cndmask_b32_e32 v32, v32, v34, vcc_lo
	v_cmp_class_f32_e64 vcc_lo, v6, 0x260
	v_cndmask_b32_e32 v6, v32, v6, vcc_lo
	s_delay_alu instid0(VALU_DEP_1) | instskip(NEXT) | instid1(VALU_DEP_1)
	v_div_scale_f32 v32, null, v39, v39, v6
	v_rcp_f32_e32 v34, v32
	v_nop
	s_delay_alu instid0(TRANS32_DEP_1) | instskip(NEXT) | instid1(VALU_DEP_1)
	v_fma_f32 v43, -v32, v34, 1.0
	v_fmac_f32_e32 v34, v43, v34
	v_div_scale_f32 v43, vcc_lo, v6, v39, v6
	s_delay_alu instid0(VALU_DEP_1) | instskip(NEXT) | instid1(VALU_DEP_1)
	v_mul_f32_e32 v44, v43, v34
	v_fma_f32 v45, -v32, v44, v43
	s_delay_alu instid0(VALU_DEP_1) | instskip(NEXT) | instid1(VALU_DEP_1)
	v_fmac_f32_e32 v44, v45, v34
	v_fma_f32 v32, -v32, v44, v43
	s_delay_alu instid0(VALU_DEP_1) | instskip(NEXT) | instid1(VALU_DEP_1)
	v_div_fmas_f32 v32, v32, v34, v44
	v_div_fixup_f32 v6, v32, v39, v6
	s_delay_alu instid0(VALU_DEP_1) | instskip(NEXT) | instid1(VALU_DEP_1)
	v_dual_mul_f32 v32, v41, v37 :: v_dual_add_f32 v6, v6, v38
	v_div_scale_f32 v34, null, v6, v6, v32
	s_delay_alu instid0(VALU_DEP_1) | instskip(SKIP_1) | instid1(TRANS32_DEP_1)
	v_rcp_f32_e32 v43, v34
	v_nop
	v_fma_f32 v44, -v34, v43, 1.0
	s_delay_alu instid0(VALU_DEP_1) | instskip(SKIP_1) | instid1(VALU_DEP_1)
	v_fmac_f32_e32 v43, v44, v43
	v_div_scale_f32 v44, vcc_lo, v32, v6, v32
	v_mul_f32_e32 v45, v44, v43
	s_delay_alu instid0(VALU_DEP_1) | instskip(NEXT) | instid1(VALU_DEP_1)
	v_fma_f32 v46, -v34, v45, v44
	v_fmac_f32_e32 v45, v46, v43
	s_delay_alu instid0(VALU_DEP_1) | instskip(SKIP_1) | instid1(VALU_DEP_2)
	v_fma_f32 v34, -v34, v45, v44
	v_bfe_u32 v44, v29, 16, 1
	v_div_fmas_f32 v34, v34, v43, v45
	s_delay_alu instid0(VALU_DEP_2) | instskip(SKIP_2) | instid1(VALU_DEP_4)
	v_add3_u32 v44, v29, v44, 0x7fff
	v_bfe_u32 v43, v31, 16, 1
	v_cmp_o_f32_e32 vcc_lo, v29, v29
	v_div_fixup_f32 v6, v34, v6, v32
	v_and_b32_e32 v32, 0xffff0000, v35
	v_dual_cndmask_b32 v35, v5, -v5, s33 :: v_dual_lshrrev_b32 v46, 16, v44
	v_add3_u32 v43, v31, v43, 0x7fff
	s_delay_alu instid0(VALU_DEP_4) | instskip(NEXT) | instid1(VALU_DEP_3)
	v_dual_sub_f32 v6, v1, v6 :: v_dual_fma_f32 v1, -v40, v9, v9
	v_dual_mul_f32 v34, v35, v35 :: v_dual_cndmask_b32 v29, 0x7fc0, v46
	s_delay_alu instid0(VALU_DEP_3) | instskip(SKIP_1) | instid1(VALU_DEP_4)
	v_and_b32_e32 v43, 0xffff0000, v43
	v_cmp_o_f32_e32 vcc_lo, v31, v31
	v_cndmask_b32_e64 v1, v9, v1, s2
	v_bfe_u32 v9, v37, 16, 1
	v_pk_fma_f32 v[34:35], v[18:19], v[34:35], v[34:35] neg_lo:[1,0,0] neg_hi:[1,0,0]
	v_add_nc_u64_e32 v[44:45], s[22:23], v[20:21]
	s_delay_alu instid0(VALU_DEP_3) | instskip(NEXT) | instid1(VALU_DEP_3)
	v_add3_u32 v9, v37, v9, 0x7fff
	v_pk_fma_f32 v[32:33], v[18:19], v[32:33], v[34:35]
	v_cndmask_b32_e32 v31, 0x7fc00000, v43, vcc_lo
	v_cmp_o_f32_e32 vcc_lo, v37, v37
	s_delay_alu instid0(VALU_DEP_4) | instskip(NEXT) | instid1(VALU_DEP_1)
	v_lshrrev_b32_e32 v9, 16, v9
	v_cndmask_b32_e32 v9, 0x7fc0, v9, vcc_lo
	v_cmp_gt_f32_e32 vcc_lo, 0xf800000, v32
	s_delay_alu instid0(VALU_DEP_2) | instskip(SKIP_1) | instid1(VALU_DEP_1)
	v_or_b32_e32 v31, v31, v9
	v_bfe_u32 v9, v36, 16, 1
	v_add3_u32 v9, v36, v9, 0x7fff
	s_delay_alu instid0(VALU_DEP_1) | instskip(SKIP_1) | instid1(VALU_DEP_1)
	v_lshrrev_b32_e32 v37, 16, v9
	v_bfe_u32 v9, v30, 16, 1
	v_add3_u32 v9, v30, v9, 0x7fff
	s_delay_alu instid0(VALU_DEP_1) | instskip(SKIP_1) | instid1(VALU_DEP_1)
	v_and_b32_e32 v43, 0xffff0000, v9
	v_bfe_u32 v9, v28, 16, 1
	v_add3_u32 v9, v28, v9, 0x7fff
	s_delay_alu instid0(VALU_DEP_1) | instskip(NEXT) | instid1(VALU_DEP_1)
	v_dual_mul_f32 v9, 0x4f800000, v32 :: v_dual_lshrrev_b32 v46, 16, v9
	v_cndmask_b32_e32 v9, v32, v9, vcc_lo
	s_delay_alu instid0(VALU_DEP_1) | instskip(SKIP_1) | instid1(TRANS32_DEP_1)
	v_sqrt_f32_e32 v34, v9
	v_nop
	v_add_nc_u32_e32 v35, -1, v34
	s_delay_alu instid0(VALU_DEP_1) | instskip(NEXT) | instid1(VALU_DEP_1)
	v_fma_f32 v47, -v35, v34, v9
	v_cmp_ge_f32_e64 s3, 0, v47
	s_delay_alu instid0(VALU_DEP_1) | instskip(NEXT) | instid1(VALU_DEP_1)
	v_dual_add_nc_u32 v47, 1, v34 :: v_dual_cndmask_b32 v35, v34, v35, s3
	v_fma_f32 v34, -v47, v34, v9
	s_delay_alu instid0(VALU_DEP_1) | instskip(NEXT) | instid1(VALU_DEP_1)
	v_cmp_lt_f32_e64 s3, 0, v34
	v_cndmask_b32_e64 v34, v35, v47, s3
	s_delay_alu instid0(VALU_DEP_1) | instskip(NEXT) | instid1(VALU_DEP_1)
	v_mul_f32_e32 v35, 0x37800000, v34
	v_cndmask_b32_e32 v34, v34, v35, vcc_lo
	v_cmp_class_f32_e64 vcc_lo, v9, 0x260
	s_delay_alu instid0(VALU_DEP_2) | instskip(NEXT) | instid1(VALU_DEP_1)
	v_cndmask_b32_e32 v9, v34, v9, vcc_lo
	v_div_scale_f32 v34, null, v39, v39, v9
	s_delay_alu instid0(VALU_DEP_1) | instskip(SKIP_1) | instid1(TRANS32_DEP_1)
	v_rcp_f32_e32 v35, v34
	v_nop
	v_fma_f32 v47, -v34, v35, 1.0
	s_delay_alu instid0(VALU_DEP_1) | instskip(SKIP_1) | instid1(VALU_DEP_1)
	v_fmac_f32_e32 v35, v47, v35
	v_div_scale_f32 v47, vcc_lo, v9, v39, v9
	v_mul_f32_e32 v48, v47, v35
	s_delay_alu instid0(VALU_DEP_1) | instskip(NEXT) | instid1(VALU_DEP_1)
	v_fma_f32 v49, -v34, v48, v47
	v_fmac_f32_e32 v48, v49, v35
	s_delay_alu instid0(VALU_DEP_1) | instskip(NEXT) | instid1(VALU_DEP_1)
	v_fma_f32 v34, -v34, v48, v47
	v_div_fmas_f32 v34, v34, v35, v48
	s_delay_alu instid0(VALU_DEP_1) | instskip(SKIP_1) | instid1(VALU_DEP_2)
	v_div_fixup_f32 v9, v34, v39, v9
	v_mul_f32_e32 v34, v41, v33
	v_add_f32_e32 v9, v9, v38
	s_delay_alu instid0(VALU_DEP_1) | instskip(NEXT) | instid1(VALU_DEP_1)
	v_div_scale_f32 v35, null, v9, v9, v34
	v_rcp_f32_e32 v47, v35
	v_nop
	s_delay_alu instid0(TRANS32_DEP_1) | instskip(NEXT) | instid1(VALU_DEP_1)
	v_fma_f32 v48, -v35, v47, 1.0
	v_fmac_f32_e32 v47, v48, v47
	v_div_scale_f32 v48, vcc_lo, v34, v9, v34
	s_delay_alu instid0(VALU_DEP_1) | instskip(NEXT) | instid1(VALU_DEP_1)
	v_mul_f32_e32 v49, v48, v47
	v_fma_f32 v50, -v35, v49, v48
	s_delay_alu instid0(VALU_DEP_1) | instskip(NEXT) | instid1(VALU_DEP_1)
	v_fmac_f32_e32 v49, v50, v47
	v_fma_f32 v35, -v35, v49, v48
	s_delay_alu instid0(VALU_DEP_1) | instskip(SKIP_1) | instid1(VALU_DEP_2)
	v_div_fmas_f32 v35, v35, v47, v49
	v_cmp_o_f32_e32 vcc_lo, v33, v33
	v_div_fixup_f32 v9, v35, v9, v34
	s_delay_alu instid0(VALU_DEP_1)
	v_sub_f32_e32 v9, v1, v9
	v_bfe_u32 v1, v33, 16, 1
	global_store_b128 v[26:27], v[6:9], off
	v_add3_u32 v1, v33, v1, 0x7fff
	s_wait_xcnt 0x0
	v_or3_b32 v6, v31, 0, 0
	s_delay_alu instid0(VALU_DEP_2) | instskip(NEXT) | instid1(VALU_DEP_1)
	v_and_b32_e32 v1, 0xffff0000, v1
	v_cndmask_b32_e32 v1, 0x7fc00000, v1, vcc_lo
	v_cmp_o_f32_e32 vcc_lo, v32, v32
	s_delay_alu instid0(VALU_DEP_2)
	v_or3_b32 v7, 0, v29, v1
	v_bfe_u32 v1, v32, 16, 1
	global_store_b64 v[44:45], v[6:7], off
	v_add3_u32 v1, v32, v1, 0x7fff
	s_wait_xcnt 0x0
	v_add_nc_u64_e32 v[6:7], s[24:25], v[20:21]
	s_delay_alu instid0(VALU_DEP_2) | instskip(NEXT) | instid1(VALU_DEP_1)
	v_and_b32_e32 v1, 0xffff0000, v1
	v_cndmask_b32_e32 v1, 0x7fc00000, v1, vcc_lo
	v_cmp_o_f32_e32 vcc_lo, v28, v28
	v_cndmask_b32_e32 v8, 0x7fc0, v46, vcc_lo
	v_cmp_o_f32_e32 vcc_lo, v30, v30
	;; [unrolled: 2-line block ×3, first 2 shown]
	v_cndmask_b32_e32 v26, 0x7fc0, v37, vcc_lo
	s_and_not1_b32 vcc_lo, exec_lo, s45
	s_delay_alu instid0(VALU_DEP_1) | instskip(SKIP_1) | instid1(VALU_DEP_2)
	v_or_b32_e32 v26, v9, v26
	v_or3_b32 v9, 0, v8, v1
	v_or3_b32 v8, v26, 0, 0
	global_store_b64 v[6:7], v[8:9], off
	s_cbranch_vccnz .LBB0_9
; %bb.19:                               ;   in Loop: Header=BB0_10 Depth=1
	global_store_b128 v[24:25], v[2:5], off
	s_branch .LBB0_9
.LBB0_20:
                                        ; implicit-def: $sgpr3
	v_mov_b32_e32 v42, s3
	s_branch .LBB0_2
.LBB0_21:
	s_or_b32 exec_lo, exec_lo, s44
	s_mov_b32 s2, 0
.LBB0_22:
	s_delay_alu instid0(SALU_CYCLE_1)
	s_and_not1_b32 vcc_lo, exec_lo, s2
	s_cbranch_vccnz .LBB0_82
; %bb.23:
	v_cmp_lt_i64_e64 s2, s[26:27], 1
	s_and_b32 vcc_lo, exec_lo, s2
	s_cbranch_vccnz .LBB0_82
; %bb.24:
	v_cvt_f32_f64_e32 v48, v[12:13]
	s_load_b32 s0, s[0:1], 0xd64
	v_dual_mov_b32 v1, 0 :: v_dual_lshlrev_b32 v18, 2, v0
	v_cvt_f32_f64_e32 v47, s[16:17]
	s_mov_b32 s3, 0
	v_min_i64 v[2:3], 0x10000, s[26:27]
	v_cvt_f32_f64_e32 v43, s[8:9]
	v_cvt_f32_f64_e32 v44, s[10:11]
	;; [unrolled: 1-line block ×4, first 2 shown]
	v_dual_mov_b32 v19, v1 :: v_dual_lshlrev_b32 v20, 1, v0
	v_dual_mov_b32 v21, v1 :: v_dual_mov_b32 v37, v1
	s_mov_b32 s9, s3
	s_mov_b32 s11, s3
	s_wait_xcnt 0x0
	s_mov_b32 s1, s3
	s_mov_b32 s17, s3
	v_add_nc_u64_e32 v[4:5], s[4:5], v[18:19]
	v_add_nc_u64_e32 v[6:7], s[20:21], v[18:19]
	s_wait_kmcnt 0x0
	s_and_b32 s2, s0, 0xffff
	v_add_nc_u64_e32 v[8:9], s[22:23], v[20:21]
	s_lshl_b32 s0, s2, 1
	v_mad_nc_u64_u32 v[22:23], s2, 12, v[18:19]
	v_mad_nc_u64_u32 v[24:25], s2, 6, v[20:21]
	s_cmp_lg_u64 s[12:13], 0
	s_mul_i32 s16, s2, 3
	s_cselect_b32 s26, -1, 0
	s_lshl_b32 s10, s2, 3
	s_lshl_b32 s8, s2, 2
	v_add_nc_u64_e32 v[28:29], s[10:11], v[18:19]
	v_div_scale_f32 v12, null, v48, v48, v42
	v_div_scale_f32 v35, vcc_lo, v42, v48, v42
	v_add_nc_u64_e32 v[32:33], s[8:9], v[20:21]
	s_delay_alu instid0(VALU_DEP_3)
	v_rcp_f32_e32 v34, v12
	v_xor_b32_e32 v30, 0x80000000, v12
	v_add_nc_u64_e32 v[12:13], s[2:3], v[0:1]
	v_add_nc_u64_e32 v[10:11], s[24:25], v[20:21]
	;; [unrolled: 1-line block ×5, first 2 shown]
	v_fma_f32 v14, v30, v34, 1.0
	v_mov_b32_e32 v41, v1
	v_add_nc_u64_e32 v[22:23], s[22:23], v[24:25]
	v_add_nc_u64_e32 v[24:25], s[24:25], v[24:25]
	v_cmp_neq_f32_e64 s0, 0, v47
	v_fmac_f32_e32 v34, v14, v34
	v_add_nc_u64_e32 v[14:15], s[16:17], v[0:1]
	v_mul_f32_e32 v47, v42, v47
	s_mov_b64 s[16:17], 0
	s_lshl_b32 s18, s2, 4
	v_dual_mul_f32 v38, v35, v34 :: v_dual_lshlrev_b32 v36, 2, v12
	s_mov_b32 s19, s3
	s_delay_alu instid0(VALU_DEP_1) | instskip(NEXT) | instid1(VALU_DEP_1)
	v_dual_lshlrev_b32 v40, 1, v12 :: v_dual_fma_f32 v26, v30, v38, v35
	v_fmac_f32_e32 v38, v26, v34
	v_add_nc_u64_e32 v[26:27], s[4:5], v[28:29]
	v_add_nc_u64_e32 v[28:29], s[20:21], v[28:29]
	s_delay_alu instid0(VALU_DEP_3) | instskip(SKIP_2) | instid1(VALU_DEP_3)
	v_fmac_f32_e32 v35, v30, v38
	v_add_nc_u64_e32 v[30:31], s[22:23], v[32:33]
	v_add_nc_u64_e32 v[32:33], s[24:25], v[32:33]
	v_div_fmas_f32 v49, v35, v34, v38
	v_add_nc_u64_e32 v[34:35], s[4:5], v[36:37]
	v_add_nc_u64_e32 v[36:37], s[20:21], v[36:37]
	;; [unrolled: 1-line block ×4, first 2 shown]
	v_div_fixup_f32 v42, v49, v48, v42
	s_branch .LBB0_27
.LBB0_25:                               ;   in Loop: Header=BB0_27 Depth=1
	s_wait_xcnt 0x0
	s_or_b32 exec_lo, exec_lo, s1
.LBB0_26:                               ;   in Loop: Header=BB0_27 Depth=1
	s_add_nc_u64 s[16:17], s[16:17], s[8:9]
	v_add_nc_u64_e32 v[4:5], s[18:19], v[4:5]
	v_cmp_ge_i64_e32 vcc_lo, s[16:17], v[2:3]
	v_add_nc_u64_e32 v[6:7], s[18:19], v[6:7]
	v_add_nc_u64_e32 v[8:9], s[10:11], v[8:9]
	;; [unrolled: 1-line block ×15, first 2 shown]
	s_cbranch_vccnz .LBB0_82
.LBB0_27:                               ; =>This Inner Loop Header: Depth=1
	v_add_nc_u64_e32 v[48:49], s[16:17], v[0:1]
	v_dual_mov_b32 v59, 0 :: v_dual_mov_b32 v64, 0
	v_mov_b32_e32 v65, 0
	s_delay_alu instid0(VALU_DEP_3)
	v_cmp_lt_i64_e64 s1, v[48:49], v[2:3]
	v_mov_b32_e32 v48, 0
	s_and_saveexec_b32 s2, s1
	s_cbranch_execz .LBB0_29
; %bb.28:                               ;   in Loop: Header=BB0_27 Depth=1
	v_add_nc_u64_e32 v[50:51], s[14:15], v[8:9]
	v_add_nc_u64_e32 v[52:53], s[14:15], v[10:11]
	v_add_nc_u64_e32 v[54:55], s[6:7], v[4:5]
	v_add_nc_u64_e32 v[56:57], s[6:7], v[6:7]
	global_load_u16 v49, v[50:51], off
	global_load_u16 v58, v[52:53], off
	global_load_b32 v59, v[54:55], off
	global_load_b32 v48, v[56:57], off
	s_wait_loadcnt 0x2
	v_dual_lshlrev_b32 v64, 16, v49 :: v_dual_lshlrev_b32 v65, 16, v58
.LBB0_29:                               ;   in Loop: Header=BB0_27 Depth=1
	s_wait_xcnt 0x0
	s_or_b32 exec_lo, exec_lo, s2
	v_add_nc_u64_e32 v[50:51], s[16:17], v[12:13]
	v_dual_mov_b32 v62, 0 :: v_dual_mov_b32 v55, 0
	v_mov_b32_e32 v49, 0
	s_delay_alu instid0(VALU_DEP_3)
	v_cmp_lt_i64_e64 s2, v[50:51], v[2:3]
	s_and_saveexec_b32 s3, s2
	s_cbranch_execz .LBB0_31
; %bb.30:                               ;   in Loop: Header=BB0_27 Depth=1
	v_add_nc_u64_e32 v[50:51], s[6:7], v[34:35]
	v_add_nc_u64_e32 v[52:53], s[6:7], v[36:37]
	global_load_b32 v55, v[50:51], off
	global_load_b32 v49, v[52:53], off
.LBB0_31:                               ;   in Loop: Header=BB0_27 Depth=1
	s_wait_xcnt 0x0
	s_or_b32 exec_lo, exec_lo, s3
	v_mov_b32_e32 v63, 0
	s_and_saveexec_b32 s3, s2
	s_cbranch_execz .LBB0_33
; %bb.32:                               ;   in Loop: Header=BB0_27 Depth=1
	v_add_nc_u64_e32 v[50:51], s[14:15], v[38:39]
	v_add_nc_u64_e32 v[52:53], s[14:15], v[40:41]
	global_load_u16 v54, v[50:51], off
	global_load_u16 v56, v[52:53], off
	s_wait_loadcnt 0x0
	v_dual_lshlrev_b32 v62, 16, v54 :: v_dual_lshlrev_b32 v63, 16, v56
.LBB0_33:                               ;   in Loop: Header=BB0_27 Depth=1
	s_wait_xcnt 0x0
	s_or_b32 exec_lo, exec_lo, s3
	v_add_nc_u64_e32 v[50:51], s[16:17], v[16:17]
	v_dual_mov_b32 v58, 0 :: v_dual_mov_b32 v53, 0
	s_delay_alu instid0(VALU_DEP_2)
	v_cmp_lt_i64_e64 s3, v[50:51], v[2:3]
	v_mov_b32_e32 v50, 0
	s_and_saveexec_b32 s4, s3
	s_cbranch_execz .LBB0_35
; %bb.34:                               ;   in Loop: Header=BB0_27 Depth=1
	v_add_nc_u64_e32 v[56:57], s[6:7], v[26:27]
	v_add_nc_u64_e32 v[60:61], s[6:7], v[28:29]
	global_load_b32 v53, v[56:57], off
	global_load_b32 v50, v[60:61], off
.LBB0_35:                               ;   in Loop: Header=BB0_27 Depth=1
	s_wait_xcnt 0x0
	s_or_b32 exec_lo, exec_lo, s4
	v_mov_b32_e32 v60, 0
	s_and_saveexec_b32 s4, s3
	s_cbranch_execz .LBB0_37
; %bb.36:                               ;   in Loop: Header=BB0_27 Depth=1
	v_add_nc_u64_e32 v[56:57], s[14:15], v[30:31]
	v_add_nc_u64_e32 v[60:61], s[14:15], v[32:33]
	global_load_u16 v51, v[56:57], off
	global_load_u16 v52, v[60:61], off
	s_wait_loadcnt 0x0
	s_wait_xcnt 0x0
	v_dual_lshlrev_b32 v58, 16, v51 :: v_dual_lshlrev_b32 v60, 16, v52
.LBB0_37:                               ;   in Loop: Header=BB0_27 Depth=1
	s_or_b32 exec_lo, exec_lo, s4
	v_add_nc_u64_e32 v[56:57], s[16:17], v[14:15]
	v_dual_mov_b32 v51, 0 :: v_dual_mov_b32 v52, 0
	s_delay_alu instid0(VALU_DEP_2)
	v_cmp_lt_i64_e64 s4, v[56:57], v[2:3]
	v_mov_b32_e32 v56, 0
	s_and_saveexec_b32 s5, s4
	s_cbranch_execnz .LBB0_63
; %bb.38:                               ;   in Loop: Header=BB0_27 Depth=1
	s_or_b32 exec_lo, exec_lo, s5
	v_mov_b32_e32 v57, 0
	s_and_saveexec_b32 s5, s4
	s_cbranch_execnz .LBB0_64
.LBB0_39:                               ;   in Loop: Header=BB0_27 Depth=1
	s_or_b32 exec_lo, exec_lo, s5
	s_delay_alu instid0(SALU_CYCLE_1)
	s_and_not1_b32 vcc_lo, exec_lo, s26
	s_cbranch_vccnz .LBB0_41
.LBB0_40:                               ;   in Loop: Header=BB0_27 Depth=1
	global_load_b32 v54, v1, s[12:13]
	s_wait_loadcnt 0x0
	v_div_scale_f32 v61, null, v54, v54, v48
	s_delay_alu instid0(VALU_DEP_1) | instskip(SKIP_1) | instid1(TRANS32_DEP_1)
	v_rcp_f32_e32 v66, v61
	v_nop
	v_fma_f32 v67, -v61, v66, 1.0
	s_delay_alu instid0(VALU_DEP_1) | instskip(SKIP_1) | instid1(VALU_DEP_1)
	v_fmac_f32_e32 v66, v67, v66
	v_div_scale_f32 v67, vcc_lo, v48, v54, v48
	v_mul_f32_e32 v68, v67, v66
	s_delay_alu instid0(VALU_DEP_1) | instskip(NEXT) | instid1(VALU_DEP_1)
	v_fma_f32 v69, -v61, v68, v67
	v_fmac_f32_e32 v68, v69, v66
	s_delay_alu instid0(VALU_DEP_1) | instskip(NEXT) | instid1(VALU_DEP_1)
	v_fma_f32 v61, -v61, v68, v67
	v_div_fmas_f32 v61, v61, v66, v68
	s_delay_alu instid0(VALU_DEP_1)
	v_div_fixup_f32 v48, v61, v54, v48
.LBB0_41:                               ;   in Loop: Header=BB0_27 Depth=1
	s_and_not1_b32 vcc_lo, exec_lo, s26
	s_cbranch_vccnz .LBB0_43
; %bb.42:                               ;   in Loop: Header=BB0_27 Depth=1
	global_load_b32 v54, v1, s[12:13]
	s_wait_loadcnt 0x0
	v_div_scale_f32 v61, null, v54, v54, v49
	s_delay_alu instid0(VALU_DEP_1) | instskip(SKIP_1) | instid1(TRANS32_DEP_1)
	v_rcp_f32_e32 v66, v61
	v_nop
	v_fma_f32 v67, -v61, v66, 1.0
	s_delay_alu instid0(VALU_DEP_1) | instskip(SKIP_1) | instid1(VALU_DEP_1)
	v_fmac_f32_e32 v66, v67, v66
	v_div_scale_f32 v67, vcc_lo, v49, v54, v49
	v_mul_f32_e32 v68, v67, v66
	s_delay_alu instid0(VALU_DEP_1) | instskip(NEXT) | instid1(VALU_DEP_1)
	v_fma_f32 v69, -v61, v68, v67
	v_fmac_f32_e32 v68, v69, v66
	s_delay_alu instid0(VALU_DEP_1) | instskip(NEXT) | instid1(VALU_DEP_1)
	v_fma_f32 v61, -v61, v68, v67
	v_div_fmas_f32 v61, v61, v66, v68
	s_delay_alu instid0(VALU_DEP_1)
	v_div_fixup_f32 v49, v61, v54, v49
.LBB0_43:                               ;   in Loop: Header=BB0_27 Depth=1
	s_and_not1_b32 vcc_lo, exec_lo, s26
	s_cbranch_vccnz .LBB0_45
; %bb.44:                               ;   in Loop: Header=BB0_27 Depth=1
	global_load_b32 v54, v1, s[12:13]
	s_wait_loadcnt 0x0
	v_div_scale_f32 v61, null, v54, v54, v50
	s_delay_alu instid0(VALU_DEP_1) | instskip(SKIP_1) | instid1(TRANS32_DEP_1)
	v_rcp_f32_e32 v66, v61
	v_nop
	v_fma_f32 v67, -v61, v66, 1.0
	s_delay_alu instid0(VALU_DEP_1) | instskip(SKIP_1) | instid1(VALU_DEP_1)
	v_fmac_f32_e32 v66, v67, v66
	v_div_scale_f32 v67, vcc_lo, v50, v54, v50
	v_mul_f32_e32 v68, v67, v66
	s_delay_alu instid0(VALU_DEP_1) | instskip(NEXT) | instid1(VALU_DEP_1)
	v_fma_f32 v69, -v61, v68, v67
	v_fmac_f32_e32 v68, v69, v66
	s_delay_alu instid0(VALU_DEP_1) | instskip(NEXT) | instid1(VALU_DEP_1)
	v_fma_f32 v61, -v61, v68, v67
	v_div_fmas_f32 v61, v61, v66, v68
	s_delay_alu instid0(VALU_DEP_1)
	v_div_fixup_f32 v50, v61, v54, v50
.LBB0_45:                               ;   in Loop: Header=BB0_27 Depth=1
	;; [unrolled: 23-line block ×3, first 2 shown]
	s_wait_loadcnt 0x0
	v_cndmask_b32_e64 v54, v48, -v48, s33
	s_delay_alu instid0(VALU_DEP_1) | instskip(NEXT) | instid1(VALU_DEP_1)
	v_dual_mul_f32 v66, v54, v54 :: v_dual_fma_f32 v61, -v43, v54, v54
	v_dual_fma_f32 v54, -v44, v66, v66 :: v_dual_fmac_f32 v61, v43, v64
	s_delay_alu instid0(VALU_DEP_1)
	v_fmac_f32_e32 v54, v44, v65
	s_wait_xcnt 0x0
	s_and_saveexec_b32 s20, s1
	s_cbranch_execz .LBB0_49
; %bb.48:                               ;   in Loop: Header=BB0_27 Depth=1
	s_delay_alu instid0(VALU_DEP_1) | instskip(SKIP_1) | instid1(VALU_DEP_2)
	v_mul_f32_e32 v64, 0x4f800000, v54
	v_cmp_gt_f32_e32 vcc_lo, 0xf800000, v54
	v_cndmask_b32_e32 v64, v54, v64, vcc_lo
	s_delay_alu instid0(VALU_DEP_1) | instskip(SKIP_1) | instid1(TRANS32_DEP_1)
	v_sqrt_f32_e32 v65, v64
	v_nop
	v_dual_add_nc_u32 v66, -1, v65 :: v_dual_add_nc_u32 v67, 1, v65
	s_delay_alu instid0(VALU_DEP_1) | instskip(NEXT) | instid1(VALU_DEP_1)
	v_dual_fma_f32 v68, -v66, v65, v64 :: v_dual_fma_f32 v69, -v67, v65, v64
	v_cmp_ge_f32_e64 s5, 0, v68
	s_delay_alu instid0(VALU_DEP_1) | instskip(NEXT) | instid1(VALU_DEP_3)
	v_cndmask_b32_e64 v65, v65, v66, s5
	v_cmp_lt_f32_e64 s5, 0, v69
	s_delay_alu instid0(VALU_DEP_1) | instskip(NEXT) | instid1(VALU_DEP_1)
	v_cndmask_b32_e64 v65, v65, v67, s5
	v_mul_f32_e32 v66, 0x37800000, v65
	s_delay_alu instid0(VALU_DEP_1) | instskip(SKIP_1) | instid1(VALU_DEP_2)
	v_cndmask_b32_e32 v65, v65, v66, vcc_lo
	v_cmp_class_f32_e64 vcc_lo, v64, 0x260
	v_cndmask_b32_e32 v64, v65, v64, vcc_lo
	s_delay_alu instid0(VALU_DEP_1) | instskip(SKIP_1) | instid1(VALU_DEP_2)
	v_div_scale_f32 v65, null, v46, v46, v64
	v_div_scale_f32 v68, vcc_lo, v64, v46, v64
	v_rcp_f32_e32 v66, v65
	v_nop
	s_delay_alu instid0(TRANS32_DEP_1) | instskip(NEXT) | instid1(VALU_DEP_1)
	v_fma_f32 v67, -v65, v66, 1.0
	v_fmac_f32_e32 v66, v67, v66
	s_delay_alu instid0(VALU_DEP_1) | instskip(NEXT) | instid1(VALU_DEP_1)
	v_mul_f32_e32 v67, v68, v66
	v_fma_f32 v69, -v65, v67, v68
	s_delay_alu instid0(VALU_DEP_1) | instskip(NEXT) | instid1(VALU_DEP_1)
	v_fmac_f32_e32 v67, v69, v66
	v_fma_f32 v65, -v65, v67, v68
	s_delay_alu instid0(VALU_DEP_1) | instskip(NEXT) | instid1(VALU_DEP_1)
	v_div_fmas_f32 v65, v65, v66, v67
	v_div_fixup_f32 v64, v65, v46, v64
	v_mul_f32_e32 v65, v42, v61
	s_delay_alu instid0(VALU_DEP_2) | instskip(NEXT) | instid1(VALU_DEP_1)
	v_add_f32_e32 v64, v64, v45
	v_div_scale_f32 v66, null, v64, v64, v65
	s_delay_alu instid0(VALU_DEP_1) | instskip(SKIP_1) | instid1(TRANS32_DEP_1)
	v_rcp_f32_e32 v67, v66
	v_nop
	v_fma_f32 v68, -v66, v67, 1.0
	s_delay_alu instid0(VALU_DEP_1) | instskip(SKIP_1) | instid1(VALU_DEP_1)
	v_fmac_f32_e32 v67, v68, v67
	v_div_scale_f32 v68, vcc_lo, v65, v64, v65
	v_mul_f32_e32 v69, v68, v67
	s_delay_alu instid0(VALU_DEP_1) | instskip(NEXT) | instid1(VALU_DEP_1)
	v_fma_f32 v70, -v66, v69, v68
	v_fmac_f32_e32 v69, v70, v67
	s_delay_alu instid0(VALU_DEP_1) | instskip(NEXT) | instid1(VALU_DEP_1)
	v_dual_fma_f32 v66, -v66, v69, v68 :: v_dual_fma_f32 v68, -v47, v59, v59
	v_cndmask_b32_e64 v59, v59, v68, s0
	s_delay_alu instid0(VALU_DEP_2) | instskip(NEXT) | instid1(VALU_DEP_1)
	v_div_fmas_f32 v66, v66, v67, v69
	v_div_fixup_f32 v66, v66, v64, v65
	v_add_nc_u64_e32 v[64:65], s[6:7], v[4:5]
	s_delay_alu instid0(VALU_DEP_2)
	v_sub_f32_e32 v59, v59, v66
	global_store_b32 v[64:65], v59, off
.LBB0_49:                               ;   in Loop: Header=BB0_27 Depth=1
	s_wait_xcnt 0x0
	s_or_b32 exec_lo, exec_lo, s20
	v_cndmask_b32_e64 v59, v49, -v49, s33
	s_delay_alu instid0(VALU_DEP_1) | instskip(NEXT) | instid1(VALU_DEP_1)
	v_fma_f32 v64, -v43, v59, v59
	v_fmac_f32_e32 v64, v43, v62
	v_mul_f32_e32 v65, v59, v59
	s_delay_alu instid0(VALU_DEP_1) | instskip(NEXT) | instid1(VALU_DEP_1)
	v_fma_f32 v59, -v44, v65, v65
	v_fmac_f32_e32 v59, v44, v63
	s_and_saveexec_b32 s20, s2
	s_cbranch_execz .LBB0_51
; %bb.50:                               ;   in Loop: Header=BB0_27 Depth=1
	s_delay_alu instid0(VALU_DEP_1) | instskip(SKIP_1) | instid1(VALU_DEP_1)
	v_cmp_gt_f32_e32 vcc_lo, 0xf800000, v59
	v_mul_f32_e32 v62, 0x4f800000, v59
	v_cndmask_b32_e32 v62, v59, v62, vcc_lo
	s_delay_alu instid0(VALU_DEP_1) | instskip(SKIP_1) | instid1(TRANS32_DEP_1)
	v_sqrt_f32_e32 v63, v62
	v_nop
	v_dual_add_nc_u32 v65, -1, v63 :: v_dual_add_nc_u32 v66, 1, v63
	s_delay_alu instid0(VALU_DEP_1) | instskip(NEXT) | instid1(VALU_DEP_1)
	v_fma_f32 v67, -v65, v63, v62
	v_cmp_ge_f32_e64 s5, 0, v67
	s_delay_alu instid0(VALU_DEP_1) | instskip(NEXT) | instid1(VALU_DEP_1)
	v_dual_fma_f32 v68, -v66, v63, v62 :: v_dual_cndmask_b32 v63, v63, v65, s5
	v_cmp_lt_f32_e64 s5, 0, v68
	s_delay_alu instid0(VALU_DEP_1) | instskip(NEXT) | instid1(VALU_DEP_1)
	v_cndmask_b32_e64 v63, v63, v66, s5
	v_mul_f32_e32 v65, 0x37800000, v63
	s_delay_alu instid0(VALU_DEP_1) | instskip(SKIP_1) | instid1(VALU_DEP_2)
	v_cndmask_b32_e32 v63, v63, v65, vcc_lo
	v_cmp_class_f32_e64 vcc_lo, v62, 0x260
	v_cndmask_b32_e32 v62, v63, v62, vcc_lo
	s_delay_alu instid0(VALU_DEP_1) | instskip(SKIP_1) | instid1(VALU_DEP_2)
	v_div_scale_f32 v63, null, v46, v46, v62
	v_div_scale_f32 v67, vcc_lo, v62, v46, v62
	v_rcp_f32_e32 v65, v63
	v_nop
	s_delay_alu instid0(TRANS32_DEP_1) | instskip(NEXT) | instid1(VALU_DEP_1)
	v_fma_f32 v66, -v63, v65, 1.0
	v_fmac_f32_e32 v65, v66, v65
	s_delay_alu instid0(VALU_DEP_1) | instskip(NEXT) | instid1(VALU_DEP_1)
	v_mul_f32_e32 v66, v67, v65
	v_fma_f32 v68, -v63, v66, v67
	s_delay_alu instid0(VALU_DEP_1) | instskip(NEXT) | instid1(VALU_DEP_1)
	v_fmac_f32_e32 v66, v68, v65
	v_fma_f32 v63, -v63, v66, v67
	s_delay_alu instid0(VALU_DEP_1) | instskip(NEXT) | instid1(VALU_DEP_1)
	v_div_fmas_f32 v63, v63, v65, v66
	v_div_fixup_f32 v62, v63, v46, v62
	v_mul_f32_e32 v63, v42, v64
	s_delay_alu instid0(VALU_DEP_2) | instskip(NEXT) | instid1(VALU_DEP_1)
	v_add_f32_e32 v62, v62, v45
	v_div_scale_f32 v65, null, v62, v62, v63
	s_delay_alu instid0(VALU_DEP_1) | instskip(SKIP_1) | instid1(TRANS32_DEP_1)
	v_rcp_f32_e32 v66, v65
	v_nop
	v_fma_f32 v67, -v65, v66, 1.0
	s_delay_alu instid0(VALU_DEP_1) | instskip(SKIP_1) | instid1(VALU_DEP_1)
	v_fmac_f32_e32 v66, v67, v66
	v_div_scale_f32 v67, vcc_lo, v63, v62, v63
	v_mul_f32_e32 v68, v67, v66
	s_delay_alu instid0(VALU_DEP_1) | instskip(NEXT) | instid1(VALU_DEP_1)
	v_fma_f32 v69, -v65, v68, v67
	v_fmac_f32_e32 v68, v69, v66
	s_delay_alu instid0(VALU_DEP_1) | instskip(SKIP_1) | instid1(VALU_DEP_1)
	v_fma_f32 v65, -v65, v68, v67
	v_fma_f32 v67, -v47, v55, v55
	v_cndmask_b32_e64 v55, v55, v67, s0
	s_delay_alu instid0(VALU_DEP_3) | instskip(NEXT) | instid1(VALU_DEP_1)
	v_div_fmas_f32 v65, v65, v66, v68
	v_div_fixup_f32 v65, v65, v62, v63
	v_add_nc_u64_e32 v[62:63], s[6:7], v[34:35]
	s_delay_alu instid0(VALU_DEP_2)
	v_sub_f32_e32 v55, v55, v65
	global_store_b32 v[62:63], v55, off
.LBB0_51:                               ;   in Loop: Header=BB0_27 Depth=1
	s_wait_xcnt 0x0
	s_or_b32 exec_lo, exec_lo, s20
	v_cndmask_b32_e64 v55, v50, -v50, s33
	s_delay_alu instid0(VALU_DEP_1) | instskip(SKIP_1) | instid1(VALU_DEP_1)
	v_mul_f32_e32 v63, v55, v55
	v_fma_f32 v62, -v43, v55, v55
	v_dual_fma_f32 v55, -v44, v63, v63 :: v_dual_fmac_f32 v62, v43, v58
	s_delay_alu instid0(VALU_DEP_1)
	v_fmac_f32_e32 v55, v44, v60
	s_and_saveexec_b32 s20, s3
	s_cbranch_execz .LBB0_53
; %bb.52:                               ;   in Loop: Header=BB0_27 Depth=1
	s_delay_alu instid0(VALU_DEP_1) | instskip(SKIP_1) | instid1(VALU_DEP_2)
	v_mul_f32_e32 v58, 0x4f800000, v55
	v_cmp_gt_f32_e32 vcc_lo, 0xf800000, v55
	v_cndmask_b32_e32 v58, v55, v58, vcc_lo
	s_delay_alu instid0(VALU_DEP_1) | instskip(SKIP_1) | instid1(TRANS32_DEP_1)
	v_sqrt_f32_e32 v60, v58
	v_nop
	v_dual_add_nc_u32 v63, -1, v60 :: v_dual_add_nc_u32 v65, 1, v60
	s_delay_alu instid0(VALU_DEP_1) | instskip(NEXT) | instid1(VALU_DEP_1)
	v_dual_fma_f32 v66, -v63, v60, v58 :: v_dual_fma_f32 v67, -v65, v60, v58
	v_cmp_ge_f32_e64 s5, 0, v66
	s_delay_alu instid0(VALU_DEP_1) | instskip(NEXT) | instid1(VALU_DEP_3)
	v_cndmask_b32_e64 v60, v60, v63, s5
	v_cmp_lt_f32_e64 s5, 0, v67
	s_delay_alu instid0(VALU_DEP_1) | instskip(NEXT) | instid1(VALU_DEP_1)
	v_cndmask_b32_e64 v60, v60, v65, s5
	v_mul_f32_e32 v63, 0x37800000, v60
	s_delay_alu instid0(VALU_DEP_1) | instskip(SKIP_1) | instid1(VALU_DEP_2)
	v_cndmask_b32_e32 v60, v60, v63, vcc_lo
	v_cmp_class_f32_e64 vcc_lo, v58, 0x260
	v_cndmask_b32_e32 v58, v60, v58, vcc_lo
	s_delay_alu instid0(VALU_DEP_1) | instskip(SKIP_1) | instid1(VALU_DEP_2)
	v_div_scale_f32 v60, null, v46, v46, v58
	v_div_scale_f32 v66, vcc_lo, v58, v46, v58
	v_rcp_f32_e32 v63, v60
	v_nop
	s_delay_alu instid0(TRANS32_DEP_1) | instskip(NEXT) | instid1(VALU_DEP_1)
	v_fma_f32 v65, -v60, v63, 1.0
	v_fmac_f32_e32 v63, v65, v63
	s_delay_alu instid0(VALU_DEP_1) | instskip(NEXT) | instid1(VALU_DEP_1)
	v_mul_f32_e32 v65, v66, v63
	v_fma_f32 v67, -v60, v65, v66
	s_delay_alu instid0(VALU_DEP_1) | instskip(NEXT) | instid1(VALU_DEP_1)
	v_fmac_f32_e32 v65, v67, v63
	v_fma_f32 v60, -v60, v65, v66
	s_delay_alu instid0(VALU_DEP_1) | instskip(NEXT) | instid1(VALU_DEP_1)
	v_div_fmas_f32 v60, v60, v63, v65
	v_div_fixup_f32 v58, v60, v46, v58
	v_mul_f32_e32 v60, v42, v62
	s_delay_alu instid0(VALU_DEP_2) | instskip(NEXT) | instid1(VALU_DEP_1)
	v_add_f32_e32 v58, v58, v45
	v_div_scale_f32 v63, null, v58, v58, v60
	s_delay_alu instid0(VALU_DEP_1) | instskip(SKIP_1) | instid1(TRANS32_DEP_1)
	v_rcp_f32_e32 v65, v63
	v_nop
	v_fma_f32 v66, -v63, v65, 1.0
	s_delay_alu instid0(VALU_DEP_1) | instskip(SKIP_1) | instid1(VALU_DEP_1)
	v_fmac_f32_e32 v65, v66, v65
	v_div_scale_f32 v66, vcc_lo, v60, v58, v60
	v_mul_f32_e32 v67, v66, v65
	s_delay_alu instid0(VALU_DEP_1) | instskip(NEXT) | instid1(VALU_DEP_1)
	v_fma_f32 v68, -v63, v67, v66
	v_fmac_f32_e32 v67, v68, v65
	s_delay_alu instid0(VALU_DEP_1) | instskip(SKIP_1) | instid1(VALU_DEP_1)
	v_fma_f32 v63, -v63, v67, v66
	v_fma_f32 v66, -v47, v53, v53
	v_cndmask_b32_e64 v53, v53, v66, s0
	s_delay_alu instid0(VALU_DEP_3) | instskip(SKIP_1) | instid1(VALU_DEP_2)
	v_div_fmas_f32 v63, v63, v65, v67
	v_add_nc_u64_e32 v[66:67], s[6:7], v[26:27]
	v_div_fixup_f32 v58, v63, v58, v60
	s_delay_alu instid0(VALU_DEP_1)
	v_sub_f32_e32 v53, v53, v58
	global_store_b32 v[66:67], v53, off
.LBB0_53:                               ;   in Loop: Header=BB0_27 Depth=1
	s_wait_xcnt 0x0
	s_or_b32 exec_lo, exec_lo, s20
	v_cndmask_b32_e64 v53, v51, -v51, s33
	s_delay_alu instid0(VALU_DEP_1) | instskip(NEXT) | instid1(VALU_DEP_1)
	v_dual_mul_f32 v60, v53, v53 :: v_dual_fma_f32 v58, -v43, v53, v53
	v_fma_f32 v53, -v44, v60, v60
	s_delay_alu instid0(VALU_DEP_1)
	v_dual_fmac_f32 v58, v43, v56 :: v_dual_fmac_f32 v53, v44, v57
	s_and_saveexec_b32 s20, s4
	s_cbranch_execnz .LBB0_65
; %bb.54:                               ;   in Loop: Header=BB0_27 Depth=1
	s_or_b32 exec_lo, exec_lo, s20
	s_and_saveexec_b32 s5, s1
	s_cbranch_execnz .LBB0_66
.LBB0_55:                               ;   in Loop: Header=BB0_27 Depth=1
	s_or_b32 exec_lo, exec_lo, s5
	s_and_saveexec_b32 s5, s2
	s_cbranch_execnz .LBB0_67
.LBB0_56:                               ;   in Loop: Header=BB0_27 Depth=1
	s_or_b32 exec_lo, exec_lo, s5
	s_and_saveexec_b32 s5, s3
	s_cbranch_execnz .LBB0_68
.LBB0_57:                               ;   in Loop: Header=BB0_27 Depth=1
	s_or_b32 exec_lo, exec_lo, s5
	s_and_saveexec_b32 s5, s4
	s_cbranch_execnz .LBB0_69
.LBB0_58:                               ;   in Loop: Header=BB0_27 Depth=1
	s_or_b32 exec_lo, exec_lo, s5
	s_and_saveexec_b32 s5, s1
	s_cbranch_execnz .LBB0_70
.LBB0_59:                               ;   in Loop: Header=BB0_27 Depth=1
	s_or_b32 exec_lo, exec_lo, s5
	s_and_saveexec_b32 s5, s2
	s_cbranch_execnz .LBB0_71
.LBB0_60:                               ;   in Loop: Header=BB0_27 Depth=1
	s_or_b32 exec_lo, exec_lo, s5
	s_and_saveexec_b32 s5, s3
	s_cbranch_execnz .LBB0_72
.LBB0_61:                               ;   in Loop: Header=BB0_27 Depth=1
	s_or_b32 exec_lo, exec_lo, s5
	s_and_saveexec_b32 s5, s4
	s_cbranch_execnz .LBB0_73
.LBB0_62:                               ;   in Loop: Header=BB0_27 Depth=1
	s_or_b32 exec_lo, exec_lo, s5
	s_delay_alu instid0(SALU_CYCLE_1)
	s_and_not1_b32 vcc_lo, exec_lo, s26
	s_cbranch_vccz .LBB0_74
	s_branch .LBB0_26
.LBB0_63:                               ;   in Loop: Header=BB0_27 Depth=1
	v_add_nc_u64_e32 v[66:67], s[6:7], v[18:19]
	v_add_nc_u64_e32 v[68:69], s[6:7], v[20:21]
	global_load_b32 v52, v[66:67], off
	global_load_b32 v51, v[68:69], off
	s_wait_xcnt 0x0
	s_or_b32 exec_lo, exec_lo, s5
	v_mov_b32_e32 v57, 0
	s_and_saveexec_b32 s5, s4
	s_cbranch_execz .LBB0_39
.LBB0_64:                               ;   in Loop: Header=BB0_27 Depth=1
	v_add_nc_u64_e32 v[56:57], s[14:15], v[22:23]
	v_add_nc_u64_e32 v[66:67], s[14:15], v[24:25]
	global_load_u16 v54, v[56:57], off
	global_load_u16 v61, v[66:67], off
	s_wait_loadcnt 0x0
	s_wait_xcnt 0x1
	v_dual_lshlrev_b32 v56, 16, v54 :: v_dual_lshlrev_b32 v57, 16, v61
	s_wait_xcnt 0x0
	s_or_b32 exec_lo, exec_lo, s5
	s_delay_alu instid0(SALU_CYCLE_1)
	s_and_not1_b32 vcc_lo, exec_lo, s26
	s_cbranch_vccz .LBB0_40
	s_branch .LBB0_41
.LBB0_65:                               ;   in Loop: Header=BB0_27 Depth=1
	s_delay_alu instid0(VALU_DEP_1) | instskip(SKIP_1) | instid1(VALU_DEP_1)
	v_cmp_gt_f32_e32 vcc_lo, 0xf800000, v53
	v_mul_f32_e32 v56, 0x4f800000, v53
	v_cndmask_b32_e32 v56, v53, v56, vcc_lo
	s_delay_alu instid0(VALU_DEP_1) | instskip(SKIP_1) | instid1(TRANS32_DEP_1)
	v_sqrt_f32_e32 v57, v56
	v_nop
	v_dual_add_nc_u32 v60, -1, v57 :: v_dual_add_nc_u32 v63, 1, v57
	s_delay_alu instid0(VALU_DEP_1) | instskip(NEXT) | instid1(VALU_DEP_1)
	v_fma_f32 v65, -v60, v57, v56
	v_cmp_ge_f32_e64 s5, 0, v65
	s_delay_alu instid0(VALU_DEP_1) | instskip(NEXT) | instid1(VALU_DEP_1)
	v_dual_fma_f32 v66, -v63, v57, v56 :: v_dual_cndmask_b32 v57, v57, v60, s5
	v_cmp_lt_f32_e64 s5, 0, v66
	s_delay_alu instid0(VALU_DEP_1) | instskip(NEXT) | instid1(VALU_DEP_1)
	v_cndmask_b32_e64 v57, v57, v63, s5
	v_mul_f32_e32 v60, 0x37800000, v57
	s_delay_alu instid0(VALU_DEP_1) | instskip(SKIP_1) | instid1(VALU_DEP_2)
	v_cndmask_b32_e32 v57, v57, v60, vcc_lo
	v_cmp_class_f32_e64 vcc_lo, v56, 0x260
	v_cndmask_b32_e32 v56, v57, v56, vcc_lo
	s_delay_alu instid0(VALU_DEP_1) | instskip(SKIP_1) | instid1(VALU_DEP_2)
	v_div_scale_f32 v57, null, v46, v46, v56
	v_div_scale_f32 v65, vcc_lo, v56, v46, v56
	v_rcp_f32_e32 v60, v57
	v_nop
	s_delay_alu instid0(TRANS32_DEP_1) | instskip(NEXT) | instid1(VALU_DEP_1)
	v_fma_f32 v63, -v57, v60, 1.0
	v_fmac_f32_e32 v60, v63, v60
	s_delay_alu instid0(VALU_DEP_1) | instskip(NEXT) | instid1(VALU_DEP_1)
	v_mul_f32_e32 v63, v65, v60
	v_fma_f32 v66, -v57, v63, v65
	s_delay_alu instid0(VALU_DEP_1) | instskip(NEXT) | instid1(VALU_DEP_1)
	v_fmac_f32_e32 v63, v66, v60
	v_fma_f32 v57, -v57, v63, v65
	s_delay_alu instid0(VALU_DEP_1) | instskip(NEXT) | instid1(VALU_DEP_1)
	v_div_fmas_f32 v57, v57, v60, v63
	v_div_fixup_f32 v56, v57, v46, v56
	s_delay_alu instid0(VALU_DEP_1) | instskip(NEXT) | instid1(VALU_DEP_1)
	v_dual_mul_f32 v57, v42, v58 :: v_dual_add_f32 v56, v56, v45
	v_div_scale_f32 v60, null, v56, v56, v57
	s_delay_alu instid0(VALU_DEP_1) | instskip(SKIP_1) | instid1(TRANS32_DEP_1)
	v_rcp_f32_e32 v63, v60
	v_nop
	v_fma_f32 v65, -v60, v63, 1.0
	s_delay_alu instid0(VALU_DEP_1) | instskip(SKIP_1) | instid1(VALU_DEP_1)
	v_fmac_f32_e32 v63, v65, v63
	v_div_scale_f32 v65, vcc_lo, v57, v56, v57
	v_mul_f32_e32 v66, v65, v63
	s_delay_alu instid0(VALU_DEP_1) | instskip(NEXT) | instid1(VALU_DEP_1)
	v_fma_f32 v67, -v60, v66, v65
	v_fmac_f32_e32 v66, v67, v63
	s_delay_alu instid0(VALU_DEP_1) | instskip(NEXT) | instid1(VALU_DEP_1)
	v_dual_fma_f32 v60, -v60, v66, v65 :: v_dual_fma_f32 v65, -v47, v52, v52
	v_div_fmas_f32 v60, v60, v63, v66
	s_delay_alu instid0(VALU_DEP_2) | instskip(NEXT) | instid1(VALU_DEP_2)
	v_cndmask_b32_e64 v52, v52, v65, s0
	v_div_fixup_f32 v60, v60, v56, v57
	v_add_nc_u64_e32 v[56:57], s[6:7], v[18:19]
	s_delay_alu instid0(VALU_DEP_2)
	v_sub_f32_e32 v52, v52, v60
	global_store_b32 v[56:57], v52, off
	s_wait_xcnt 0x0
	s_or_b32 exec_lo, exec_lo, s20
	s_and_saveexec_b32 s5, s1
	s_cbranch_execz .LBB0_55
.LBB0_66:                               ;   in Loop: Header=BB0_27 Depth=1
	v_bfe_u32 v52, v61, 16, 1
	v_cmp_o_f32_e32 vcc_lo, v61, v61
	v_add_nc_u64_e32 v[56:57], s[14:15], v[8:9]
	s_delay_alu instid0(VALU_DEP_3) | instskip(NEXT) | instid1(VALU_DEP_1)
	v_add3_u32 v52, v61, v52, 0x7fff
	v_lshrrev_b32_e32 v52, 16, v52
	s_delay_alu instid0(VALU_DEP_1)
	v_cndmask_b32_e32 v52, 0x7fc0, v52, vcc_lo
	global_store_b16 v[56:57], v52, off
	s_wait_xcnt 0x0
	s_or_b32 exec_lo, exec_lo, s5
	s_and_saveexec_b32 s5, s2
	s_cbranch_execz .LBB0_56
.LBB0_67:                               ;   in Loop: Header=BB0_27 Depth=1
	v_bfe_u32 v52, v64, 16, 1
	v_cmp_o_f32_e32 vcc_lo, v64, v64
	v_add_nc_u64_e32 v[56:57], s[14:15], v[38:39]
	s_delay_alu instid0(VALU_DEP_3) | instskip(NEXT) | instid1(VALU_DEP_1)
	v_add3_u32 v52, v64, v52, 0x7fff
	v_lshrrev_b32_e32 v52, 16, v52
	s_delay_alu instid0(VALU_DEP_1)
	v_cndmask_b32_e32 v52, 0x7fc0, v52, vcc_lo
	global_store_b16 v[56:57], v52, off
	s_wait_xcnt 0x0
	s_or_b32 exec_lo, exec_lo, s5
	s_and_saveexec_b32 s5, s3
	s_cbranch_execz .LBB0_57
.LBB0_68:                               ;   in Loop: Header=BB0_27 Depth=1
	v_bfe_u32 v52, v62, 16, 1
	v_cmp_o_f32_e32 vcc_lo, v62, v62
	v_add_nc_u64_e32 v[56:57], s[14:15], v[30:31]
	s_delay_alu instid0(VALU_DEP_3) | instskip(NEXT) | instid1(VALU_DEP_1)
	v_add3_u32 v52, v62, v52, 0x7fff
	v_lshrrev_b32_e32 v52, 16, v52
	s_delay_alu instid0(VALU_DEP_1)
	v_cndmask_b32_e32 v52, 0x7fc0, v52, vcc_lo
	global_store_b16 v[56:57], v52, off
	s_wait_xcnt 0x0
	s_or_b32 exec_lo, exec_lo, s5
	s_and_saveexec_b32 s5, s4
	s_cbranch_execz .LBB0_58
.LBB0_69:                               ;   in Loop: Header=BB0_27 Depth=1
	v_bfe_u32 v52, v58, 16, 1
	v_cmp_o_f32_e32 vcc_lo, v58, v58
	v_add_nc_u64_e32 v[56:57], s[14:15], v[22:23]
	s_delay_alu instid0(VALU_DEP_3) | instskip(NEXT) | instid1(VALU_DEP_1)
	v_add3_u32 v52, v58, v52, 0x7fff
	v_lshrrev_b32_e32 v52, 16, v52
	s_delay_alu instid0(VALU_DEP_1)
	v_cndmask_b32_e32 v52, 0x7fc0, v52, vcc_lo
	global_store_b16 v[56:57], v52, off
	s_wait_xcnt 0x0
	s_or_b32 exec_lo, exec_lo, s5
	s_and_saveexec_b32 s5, s1
	s_cbranch_execz .LBB0_59
.LBB0_70:                               ;   in Loop: Header=BB0_27 Depth=1
	v_bfe_u32 v52, v54, 16, 1
	v_cmp_o_f32_e32 vcc_lo, v54, v54
	v_add_nc_u64_e32 v[56:57], s[14:15], v[10:11]
	s_delay_alu instid0(VALU_DEP_3) | instskip(NEXT) | instid1(VALU_DEP_1)
	v_add3_u32 v52, v54, v52, 0x7fff
	v_lshrrev_b32_e32 v52, 16, v52
	s_delay_alu instid0(VALU_DEP_1)
	v_cndmask_b32_e32 v52, 0x7fc0, v52, vcc_lo
	global_store_b16 v[56:57], v52, off
	s_wait_xcnt 0x0
	s_or_b32 exec_lo, exec_lo, s5
	s_and_saveexec_b32 s5, s2
	s_cbranch_execz .LBB0_60
.LBB0_71:                               ;   in Loop: Header=BB0_27 Depth=1
	v_bfe_u32 v52, v59, 16, 1
	v_cmp_o_f32_e32 vcc_lo, v59, v59
	v_add_nc_u64_e32 v[56:57], s[14:15], v[40:41]
	s_delay_alu instid0(VALU_DEP_3) | instskip(NEXT) | instid1(VALU_DEP_1)
	v_add3_u32 v52, v59, v52, 0x7fff
	v_lshrrev_b32_e32 v52, 16, v52
	s_delay_alu instid0(VALU_DEP_1)
	v_cndmask_b32_e32 v52, 0x7fc0, v52, vcc_lo
	global_store_b16 v[56:57], v52, off
	s_wait_xcnt 0x0
	s_or_b32 exec_lo, exec_lo, s5
	s_and_saveexec_b32 s5, s3
	s_cbranch_execz .LBB0_61
.LBB0_72:                               ;   in Loop: Header=BB0_27 Depth=1
	v_bfe_u32 v52, v55, 16, 1
	v_cmp_o_f32_e32 vcc_lo, v55, v55
	v_add_nc_u64_e32 v[56:57], s[14:15], v[32:33]
	s_delay_alu instid0(VALU_DEP_3) | instskip(NEXT) | instid1(VALU_DEP_1)
	v_add3_u32 v52, v55, v52, 0x7fff
	v_lshrrev_b32_e32 v52, 16, v52
	s_delay_alu instid0(VALU_DEP_1)
	v_cndmask_b32_e32 v52, 0x7fc0, v52, vcc_lo
	global_store_b16 v[56:57], v52, off
	s_wait_xcnt 0x0
	s_or_b32 exec_lo, exec_lo, s5
	s_and_saveexec_b32 s5, s4
	s_cbranch_execz .LBB0_62
.LBB0_73:                               ;   in Loop: Header=BB0_27 Depth=1
	v_bfe_u32 v52, v53, 16, 1
	v_cmp_o_f32_e32 vcc_lo, v53, v53
	v_add_nc_u64_e32 v[54:55], s[14:15], v[24:25]
	s_delay_alu instid0(VALU_DEP_3) | instskip(NEXT) | instid1(VALU_DEP_1)
	v_add3_u32 v52, v53, v52, 0x7fff
	v_lshrrev_b32_e32 v52, 16, v52
	s_delay_alu instid0(VALU_DEP_1) | instskip(SKIP_3) | instid1(SALU_CYCLE_1)
	v_cndmask_b32_e32 v52, 0x7fc0, v52, vcc_lo
	global_store_b16 v[54:55], v52, off
	s_wait_xcnt 0x0
	s_or_b32 exec_lo, exec_lo, s5
	s_and_not1_b32 vcc_lo, exec_lo, s26
	s_cbranch_vccnz .LBB0_26
.LBB0_74:                               ;   in Loop: Header=BB0_27 Depth=1
	s_and_saveexec_b32 s5, s1
	s_cbranch_execnz .LBB0_78
; %bb.75:                               ;   in Loop: Header=BB0_27 Depth=1
	s_or_b32 exec_lo, exec_lo, s5
	s_and_saveexec_b32 s1, s2
	s_cbranch_execnz .LBB0_79
.LBB0_76:                               ;   in Loop: Header=BB0_27 Depth=1
	s_or_b32 exec_lo, exec_lo, s1
	s_and_saveexec_b32 s1, s3
	s_cbranch_execnz .LBB0_80
.LBB0_77:                               ;   in Loop: Header=BB0_27 Depth=1
	s_or_b32 exec_lo, exec_lo, s1
	s_and_saveexec_b32 s1, s4
	s_cbranch_execz .LBB0_25
	s_branch .LBB0_81
.LBB0_78:                               ;   in Loop: Header=BB0_27 Depth=1
	v_add_nc_u64_e32 v[52:53], s[6:7], v[6:7]
	global_store_b32 v[52:53], v48, off
	s_wait_xcnt 0x0
	s_or_b32 exec_lo, exec_lo, s5
	s_and_saveexec_b32 s1, s2
	s_cbranch_execz .LBB0_76
.LBB0_79:                               ;   in Loop: Header=BB0_27 Depth=1
	v_add_nc_u64_e32 v[52:53], s[6:7], v[36:37]
	global_store_b32 v[52:53], v49, off
	s_wait_xcnt 0x0
	s_or_b32 exec_lo, exec_lo, s1
	s_and_saveexec_b32 s1, s3
	s_cbranch_execz .LBB0_77
.LBB0_80:                               ;   in Loop: Header=BB0_27 Depth=1
	v_add_nc_u64_e32 v[48:49], s[6:7], v[28:29]
	global_store_b32 v[48:49], v50, off
	s_wait_xcnt 0x0
	s_or_b32 exec_lo, exec_lo, s1
	s_and_saveexec_b32 s1, s4
	s_cbranch_execz .LBB0_25
.LBB0_81:                               ;   in Loop: Header=BB0_27 Depth=1
	v_add_nc_u64_e32 v[48:49], s[6:7], v[20:21]
	global_store_b32 v[48:49], v51, off
	s_branch .LBB0_25
.LBB0_82:
	s_sendmsg sendmsg(MSG_DEALLOC_VGPRS)
	s_endpgm
	.section	.rodata,"a",@progbits
	.p2align	6, 0x0
	.amdhsa_kernel _ZN2at6native12_GLOBAL__N_125multi_tensor_apply_kernelINS1_32FusedOptimizerTensorListMetadataILi4EEENS1_22FusedAdamMathFunctorMPIfffN3c108BFloat16ES7_fLi4ELNS0_9ADAM_MODEE1ELb0EEEJPKfdddddbSB_SB_EEEvT_T0_DpT1_
		.amdhsa_group_segment_fixed_size 0
		.amdhsa_private_segment_fixed_size 0
		.amdhsa_kernarg_size 3672
		.amdhsa_user_sgpr_count 2
		.amdhsa_user_sgpr_dispatch_ptr 0
		.amdhsa_user_sgpr_queue_ptr 0
		.amdhsa_user_sgpr_kernarg_segment_ptr 1
		.amdhsa_user_sgpr_dispatch_id 0
		.amdhsa_user_sgpr_kernarg_preload_length 0
		.amdhsa_user_sgpr_kernarg_preload_offset 0
		.amdhsa_user_sgpr_private_segment_size 0
		.amdhsa_wavefront_size32 1
		.amdhsa_uses_dynamic_stack 0
		.amdhsa_enable_private_segment 0
		.amdhsa_system_sgpr_workgroup_id_x 1
		.amdhsa_system_sgpr_workgroup_id_y 0
		.amdhsa_system_sgpr_workgroup_id_z 0
		.amdhsa_system_sgpr_workgroup_info 0
		.amdhsa_system_vgpr_workitem_id 0
		.amdhsa_next_free_vgpr 71
		.amdhsa_next_free_sgpr 47
		.amdhsa_named_barrier_count 0
		.amdhsa_reserve_vcc 1
		.amdhsa_float_round_mode_32 0
		.amdhsa_float_round_mode_16_64 0
		.amdhsa_float_denorm_mode_32 3
		.amdhsa_float_denorm_mode_16_64 3
		.amdhsa_fp16_overflow 0
		.amdhsa_memory_ordered 1
		.amdhsa_forward_progress 1
		.amdhsa_inst_pref_size 89
		.amdhsa_round_robin_scheduling 0
		.amdhsa_exception_fp_ieee_invalid_op 0
		.amdhsa_exception_fp_denorm_src 0
		.amdhsa_exception_fp_ieee_div_zero 0
		.amdhsa_exception_fp_ieee_overflow 0
		.amdhsa_exception_fp_ieee_underflow 0
		.amdhsa_exception_fp_ieee_inexact 0
		.amdhsa_exception_int_div_zero 0
	.end_amdhsa_kernel
	.section	.text._ZN2at6native12_GLOBAL__N_125multi_tensor_apply_kernelINS1_32FusedOptimizerTensorListMetadataILi4EEENS1_22FusedAdamMathFunctorMPIfffN3c108BFloat16ES7_fLi4ELNS0_9ADAM_MODEE1ELb0EEEJPKfdddddbSB_SB_EEEvT_T0_DpT1_,"axG",@progbits,_ZN2at6native12_GLOBAL__N_125multi_tensor_apply_kernelINS1_32FusedOptimizerTensorListMetadataILi4EEENS1_22FusedAdamMathFunctorMPIfffN3c108BFloat16ES7_fLi4ELNS0_9ADAM_MODEE1ELb0EEEJPKfdddddbSB_SB_EEEvT_T0_DpT1_,comdat
.Lfunc_end0:
	.size	_ZN2at6native12_GLOBAL__N_125multi_tensor_apply_kernelINS1_32FusedOptimizerTensorListMetadataILi4EEENS1_22FusedAdamMathFunctorMPIfffN3c108BFloat16ES7_fLi4ELNS0_9ADAM_MODEE1ELb0EEEJPKfdddddbSB_SB_EEEvT_T0_DpT1_, .Lfunc_end0-_ZN2at6native12_GLOBAL__N_125multi_tensor_apply_kernelINS1_32FusedOptimizerTensorListMetadataILi4EEENS1_22FusedAdamMathFunctorMPIfffN3c108BFloat16ES7_fLi4ELNS0_9ADAM_MODEE1ELb0EEEJPKfdddddbSB_SB_EEEvT_T0_DpT1_
                                        ; -- End function
	.set _ZN2at6native12_GLOBAL__N_125multi_tensor_apply_kernelINS1_32FusedOptimizerTensorListMetadataILi4EEENS1_22FusedAdamMathFunctorMPIfffN3c108BFloat16ES7_fLi4ELNS0_9ADAM_MODEE1ELb0EEEJPKfdddddbSB_SB_EEEvT_T0_DpT1_.num_vgpr, 71
	.set _ZN2at6native12_GLOBAL__N_125multi_tensor_apply_kernelINS1_32FusedOptimizerTensorListMetadataILi4EEENS1_22FusedAdamMathFunctorMPIfffN3c108BFloat16ES7_fLi4ELNS0_9ADAM_MODEE1ELb0EEEJPKfdddddbSB_SB_EEEvT_T0_DpT1_.num_agpr, 0
	.set _ZN2at6native12_GLOBAL__N_125multi_tensor_apply_kernelINS1_32FusedOptimizerTensorListMetadataILi4EEENS1_22FusedAdamMathFunctorMPIfffN3c108BFloat16ES7_fLi4ELNS0_9ADAM_MODEE1ELb0EEEJPKfdddddbSB_SB_EEEvT_T0_DpT1_.numbered_sgpr, 47
	.set _ZN2at6native12_GLOBAL__N_125multi_tensor_apply_kernelINS1_32FusedOptimizerTensorListMetadataILi4EEENS1_22FusedAdamMathFunctorMPIfffN3c108BFloat16ES7_fLi4ELNS0_9ADAM_MODEE1ELb0EEEJPKfdddddbSB_SB_EEEvT_T0_DpT1_.num_named_barrier, 0
	.set _ZN2at6native12_GLOBAL__N_125multi_tensor_apply_kernelINS1_32FusedOptimizerTensorListMetadataILi4EEENS1_22FusedAdamMathFunctorMPIfffN3c108BFloat16ES7_fLi4ELNS0_9ADAM_MODEE1ELb0EEEJPKfdddddbSB_SB_EEEvT_T0_DpT1_.private_seg_size, 0
	.set _ZN2at6native12_GLOBAL__N_125multi_tensor_apply_kernelINS1_32FusedOptimizerTensorListMetadataILi4EEENS1_22FusedAdamMathFunctorMPIfffN3c108BFloat16ES7_fLi4ELNS0_9ADAM_MODEE1ELb0EEEJPKfdddddbSB_SB_EEEvT_T0_DpT1_.uses_vcc, 1
	.set _ZN2at6native12_GLOBAL__N_125multi_tensor_apply_kernelINS1_32FusedOptimizerTensorListMetadataILi4EEENS1_22FusedAdamMathFunctorMPIfffN3c108BFloat16ES7_fLi4ELNS0_9ADAM_MODEE1ELb0EEEJPKfdddddbSB_SB_EEEvT_T0_DpT1_.uses_flat_scratch, 0
	.set _ZN2at6native12_GLOBAL__N_125multi_tensor_apply_kernelINS1_32FusedOptimizerTensorListMetadataILi4EEENS1_22FusedAdamMathFunctorMPIfffN3c108BFloat16ES7_fLi4ELNS0_9ADAM_MODEE1ELb0EEEJPKfdddddbSB_SB_EEEvT_T0_DpT1_.has_dyn_sized_stack, 0
	.set _ZN2at6native12_GLOBAL__N_125multi_tensor_apply_kernelINS1_32FusedOptimizerTensorListMetadataILi4EEENS1_22FusedAdamMathFunctorMPIfffN3c108BFloat16ES7_fLi4ELNS0_9ADAM_MODEE1ELb0EEEJPKfdddddbSB_SB_EEEvT_T0_DpT1_.has_recursion, 0
	.set _ZN2at6native12_GLOBAL__N_125multi_tensor_apply_kernelINS1_32FusedOptimizerTensorListMetadataILi4EEENS1_22FusedAdamMathFunctorMPIfffN3c108BFloat16ES7_fLi4ELNS0_9ADAM_MODEE1ELb0EEEJPKfdddddbSB_SB_EEEvT_T0_DpT1_.has_indirect_call, 0
	.section	.AMDGPU.csdata,"",@progbits
; Kernel info:
; codeLenInByte = 11268
; TotalNumSgprs: 49
; NumVgprs: 71
; ScratchSize: 0
; MemoryBound: 0
; FloatMode: 240
; IeeeMode: 1
; LDSByteSize: 0 bytes/workgroup (compile time only)
; SGPRBlocks: 0
; VGPRBlocks: 4
; NumSGPRsForWavesPerEU: 49
; NumVGPRsForWavesPerEU: 71
; NamedBarCnt: 0
; Occupancy: 12
; WaveLimiterHint : 0
; COMPUTE_PGM_RSRC2:SCRATCH_EN: 0
; COMPUTE_PGM_RSRC2:USER_SGPR: 2
; COMPUTE_PGM_RSRC2:TRAP_HANDLER: 0
; COMPUTE_PGM_RSRC2:TGID_X_EN: 1
; COMPUTE_PGM_RSRC2:TGID_Y_EN: 0
; COMPUTE_PGM_RSRC2:TGID_Z_EN: 0
; COMPUTE_PGM_RSRC2:TIDIG_COMP_CNT: 0
	.section	.text._ZN2at6native12_GLOBAL__N_125multi_tensor_apply_kernelINS1_32FusedOptimizerTensorListMetadataILi4EEENS1_20FusedAdamMathFunctorIdLi4ELNS0_9ADAM_MODEE1ELb0EEEJPKfdddddbS9_S9_EEEvT_T0_DpT1_,"axG",@progbits,_ZN2at6native12_GLOBAL__N_125multi_tensor_apply_kernelINS1_32FusedOptimizerTensorListMetadataILi4EEENS1_20FusedAdamMathFunctorIdLi4ELNS0_9ADAM_MODEE1ELb0EEEJPKfdddddbS9_S9_EEEvT_T0_DpT1_,comdat
	.globl	_ZN2at6native12_GLOBAL__N_125multi_tensor_apply_kernelINS1_32FusedOptimizerTensorListMetadataILi4EEENS1_20FusedAdamMathFunctorIdLi4ELNS0_9ADAM_MODEE1ELb0EEEJPKfdddddbS9_S9_EEEvT_T0_DpT1_ ; -- Begin function _ZN2at6native12_GLOBAL__N_125multi_tensor_apply_kernelINS1_32FusedOptimizerTensorListMetadataILi4EEENS1_20FusedAdamMathFunctorIdLi4ELNS0_9ADAM_MODEE1ELb0EEEJPKfdddddbS9_S9_EEEvT_T0_DpT1_
	.p2align	8
	.type	_ZN2at6native12_GLOBAL__N_125multi_tensor_apply_kernelINS1_32FusedOptimizerTensorListMetadataILi4EEENS1_20FusedAdamMathFunctorIdLi4ELNS0_9ADAM_MODEE1ELb0EEEJPKfdddddbS9_S9_EEEvT_T0_DpT1_,@function
_ZN2at6native12_GLOBAL__N_125multi_tensor_apply_kernelINS1_32FusedOptimizerTensorListMetadataILi4EEENS1_20FusedAdamMathFunctorIdLi4ELNS0_9ADAM_MODEE1ELb0EEEJPKfdddddbS9_S9_EEEvT_T0_DpT1_: ; @_ZN2at6native12_GLOBAL__N_125multi_tensor_apply_kernelINS1_32FusedOptimizerTensorListMetadataILi4EEENS1_20FusedAdamMathFunctorIdLi4ELNS0_9ADAM_MODEE1ELb0EEEJPKfdddddbS9_S9_EEEvT_T0_DpT1_
; %bb.0:
	s_bfe_u32 s2, ttmp6, 0x4000c
	s_and_b32 s3, ttmp6, 15
	s_add_co_i32 s2, s2, 1
	s_getreg_b32 s4, hwreg(HW_REG_IB_STS2, 6, 4)
	s_mul_i32 s2, ttmp9, s2
	s_mov_b32 s17, 0
	s_add_co_i32 s3, s3, s2
	s_cmp_eq_u32 s4, 0
	s_load_b256 s[4:11], s[0:1], 0xd10
	s_cselect_b32 s16, ttmp9, s3
	s_delay_alu instid0(SALU_CYCLE_1)
	v_mov_b32_e32 v1, s16
	global_load_u8 v1, v1, s[0:1] offset:1728
	s_wait_kmcnt 0x0
	v_mov_b64_e32 v[44:45], s[6:7]
	s_cmp_eq_u64 s[4:5], 0
	s_wait_loadcnt 0x0
	v_readfirstlane_b32 s3, v1
	s_cbranch_scc1 .LBB1_2
; %bb.1:
	s_load_b32 s2, s[4:5], 0x0
	s_wait_kmcnt 0x0
	v_cvt_f64_f32_e32 v[44:45], s2
.LBB1_2:
	s_load_b128 s[12:15], s[0:1], 0xd48
	s_wait_kmcnt 0x0
	s_cmp_eq_u64 s[14:15], 0
	s_cselect_b32 s2, -1, 0
	s_delay_alu instid0(SALU_CYCLE_1)
	s_and_b32 vcc_lo, exec_lo, s2
	s_cbranch_vccnz .LBB1_4
; %bb.3:
	s_load_b32 s2, s[14:15], 0x0
	s_wait_kmcnt 0x0
	s_cmp_neq_f32 s2, 1.0
	s_cselect_b32 s2, -1, 0
.LBB1_4:
	s_delay_alu instid0(SALU_CYCLE_1)
	s_and_not1_b32 vcc_lo, exec_lo, s2
	s_cbranch_vccnz .LBB1_82
; %bb.5:
	s_load_b32 s2, s[0:1], 0xd40
	v_cmp_neq_f64_e64 vcc_lo, s[8:9], 1.0
	s_mov_b64 s[20:21], 0x3fe5555555555555
	s_mov_b64 s[18:19], 0x3fe62e42fefa39ef
	s_wait_kmcnt 0x0
	s_bitcmp1_b32 s2, 0
	s_cselect_b32 s2, -1, 0
	s_and_b32 s28, s3, 0xff
	s_clause 0x1
	s_load_b64 s[4:5], s[0:1], s28 offset:0x5a0 scale_offset
	s_load_b64 s[26:27], s[0:1], s28 offset:0x480 scale_offset
	s_wait_kmcnt 0x0
	s_load_b32 s3, s[4:5], 0x0
	s_wait_kmcnt 0x0
	v_cvt_f64_f32_e32 v[4:5], s3
	s_delay_alu instid0(VALU_DEP_1) | instskip(NEXT) | instid1(VALU_DEP_2)
	v_cndmask_b32_e32 v3, 0x3ff00000, v5, vcc_lo
	v_cndmask_b32_e32 v2, 0, v4, vcc_lo
	s_delay_alu instid0(VALU_DEP_1) | instskip(SKIP_3) | instid1(SALU_CYCLE_1)
	v_cmp_neq_f64_e32 vcc_lo, 0, v[2:3]
	s_and_b32 s3, vcc_lo, exec_lo
	s_cselect_b32 s7, s9, 0x3ff00000
	s_cselect_b32 s6, s8, 0
	v_frexp_mant_f64_e64 v[6:7], |s[6:7]|
	v_cmp_lt_f64_e64 s15, |s[6:7]|, 1.0
	v_cmp_neq_f64_e64 s22, |s[6:7]|, 1.0
	v_cmp_eq_f64_e64 s23, s[6:7], 0
	v_cmp_class_f64_e64 s24, s[6:7], 0x204
	v_cmp_gt_f64_e32 vcc_lo, s[20:21], v[6:7]
	v_cndmask_b32_e64 v1, 0, 1, vcc_lo
	s_delay_alu instid0(VALU_DEP_1) | instskip(SKIP_1) | instid1(VALU_DEP_2)
	v_ldexp_f64 v[6:7], v[6:7], v1
	v_frexp_exp_i32_f64_e32 v1, s[6:7]
	v_add_f64_e32 v[8:9], 1.0, v[6:7]
	v_add_f64_e32 v[14:15], -1.0, v[6:7]
	s_delay_alu instid0(VALU_DEP_3) | instskip(SKIP_1) | instid1(VALU_DEP_4)
	v_subrev_co_ci_u32_e64 v1, null, 0, v1, vcc_lo
	v_cmp_neq_f64_e64 s14, v[2:3], |v[2:3]|
	v_rcp_f64_e32 v[10:11], v[8:9]
	v_add_f64_e32 v[16:17], -1.0, v[8:9]
	s_delay_alu instid0(VALU_DEP_1) | instskip(NEXT) | instid1(TRANS32_DEP_1)
	v_add_f64_e64 v[6:7], v[6:7], -v[16:17]
	v_fma_f64 v[12:13], -v[8:9], v[10:11], 1.0
	s_delay_alu instid0(VALU_DEP_1) | instskip(NEXT) | instid1(VALU_DEP_1)
	v_fmac_f64_e32 v[10:11], v[12:13], v[10:11]
	v_fma_f64 v[12:13], -v[8:9], v[10:11], 1.0
	s_delay_alu instid0(VALU_DEP_1) | instskip(NEXT) | instid1(VALU_DEP_1)
	v_fmac_f64_e32 v[10:11], v[12:13], v[10:11]
	v_mul_f64_e32 v[12:13], v[14:15], v[10:11]
	s_delay_alu instid0(VALU_DEP_1) | instskip(NEXT) | instid1(VALU_DEP_1)
	v_mul_f64_e32 v[18:19], v[8:9], v[12:13]
	v_fma_f64 v[8:9], v[12:13], v[8:9], -v[18:19]
	s_delay_alu instid0(VALU_DEP_1) | instskip(NEXT) | instid1(VALU_DEP_1)
	v_fmac_f64_e32 v[8:9], v[12:13], v[6:7]
	v_add_f64_e32 v[6:7], v[18:19], v[8:9]
	s_delay_alu instid0(VALU_DEP_1) | instskip(SKIP_1) | instid1(VALU_DEP_2)
	v_add_f64_e64 v[16:17], v[14:15], -v[6:7]
	v_add_f64_e64 v[18:19], v[6:7], -v[18:19]
	;; [unrolled: 1-line block ×3, first 2 shown]
	s_delay_alu instid0(VALU_DEP_2) | instskip(NEXT) | instid1(VALU_DEP_2)
	v_add_f64_e64 v[8:9], v[18:19], -v[8:9]
	v_add_f64_e64 v[6:7], v[14:15], -v[6:7]
	s_delay_alu instid0(VALU_DEP_1) | instskip(NEXT) | instid1(VALU_DEP_1)
	v_add_f64_e32 v[6:7], v[8:9], v[6:7]
	v_add_f64_e32 v[6:7], v[16:17], v[6:7]
	v_mov_b64_e32 v[16:17], 0x3fba6564968915a9
	s_delay_alu instid0(VALU_DEP_2) | instskip(NEXT) | instid1(VALU_DEP_1)
	v_mul_f64_e32 v[6:7], v[10:11], v[6:7]
	v_add_f64_e32 v[8:9], v[12:13], v[6:7]
	s_delay_alu instid0(VALU_DEP_1) | instskip(SKIP_1) | instid1(VALU_DEP_2)
	v_add_f64_e64 v[10:11], v[8:9], -v[12:13]
	v_mul_f64_e32 v[12:13], v[8:9], v[8:9]
	v_add_f64_e64 v[6:7], v[6:7], -v[10:11]
	s_delay_alu instid0(VALU_DEP_2) | instskip(NEXT) | instid1(VALU_DEP_2)
	v_fma_f64 v[10:11], v[8:9], v[8:9], -v[12:13]
	v_add_f64_e32 v[14:15], v[6:7], v[6:7]
	s_delay_alu instid0(VALU_DEP_1) | instskip(NEXT) | instid1(VALU_DEP_1)
	v_fmac_f64_e32 v[10:11], v[8:9], v[14:15]
	v_add_f64_e32 v[14:15], v[12:13], v[10:11]
	s_delay_alu instid0(VALU_DEP_1) | instskip(SKIP_2) | instid1(VALU_DEP_3)
	v_fmamk_f64 v[18:19], v[14:15], 0x3fbdee674222de17, v[16:17]
	v_add_f64_e64 v[12:13], v[14:15], -v[12:13]
	v_mul_f64_e32 v[24:25], v[8:9], v[14:15]
	v_fmaak_f64 v[18:19], v[14:15], v[18:19], 0x3fbe25e43abe935a
	s_delay_alu instid0(VALU_DEP_1) | instskip(NEXT) | instid1(VALU_DEP_1)
	v_fmaak_f64 v[18:19], v[14:15], v[18:19], 0x3fc110ef47e6c9c2
	v_fmaak_f64 v[18:19], v[14:15], v[18:19], 0x3fc3b13bcfa74449
	s_delay_alu instid0(VALU_DEP_1) | instskip(SKIP_1) | instid1(VALU_DEP_2)
	v_fmaak_f64 v[18:19], v[14:15], v[18:19], 0x3fc745d171bf3c30
	v_add_f64_e64 v[10:11], v[10:11], -v[12:13]
	v_fmaak_f64 v[18:19], v[14:15], v[18:19], 0x3fcc71c71c7792ce
	s_delay_alu instid0(VALU_DEP_1) | instskip(NEXT) | instid1(VALU_DEP_1)
	v_fmaak_f64 v[18:19], v[14:15], v[18:19], 0x3fd24924924920da
	v_fmaak_f64 v[18:19], v[14:15], v[18:19], 0x3fd999999999999c
	s_delay_alu instid0(VALU_DEP_1) | instskip(NEXT) | instid1(VALU_DEP_1)
	v_mul_f64_e32 v[20:21], v[14:15], v[18:19]
	v_fma_f64 v[12:13], v[14:15], v[18:19], -v[20:21]
	s_delay_alu instid0(VALU_DEP_1) | instskip(NEXT) | instid1(VALU_DEP_1)
	v_fmac_f64_e32 v[12:13], v[10:11], v[18:19]
	v_add_f64_e32 v[18:19], v[20:21], v[12:13]
	s_delay_alu instid0(VALU_DEP_1) | instskip(SKIP_1) | instid1(VALU_DEP_2)
	v_add_f64_e32 v[22:23], 0x3fe5555555555555, v[18:19]
	v_add_f64_e64 v[20:21], v[18:19], -v[20:21]
	v_add_f64_e32 v[26:27], 0xbfe5555555555555, v[22:23]
	s_delay_alu instid0(VALU_DEP_2) | instskip(SKIP_1) | instid1(VALU_DEP_3)
	v_add_f64_e64 v[12:13], v[12:13], -v[20:21]
	v_fma_f64 v[20:21], v[14:15], v[8:9], -v[24:25]
	v_add_f64_e64 v[18:19], v[18:19], -v[26:27]
	s_delay_alu instid0(VALU_DEP_3) | instskip(NEXT) | instid1(VALU_DEP_3)
	v_add_f64_e32 v[12:13], 0x3c8543b0d5df274d, v[12:13]
	v_fmac_f64_e32 v[20:21], v[14:15], v[6:7]
	v_ldexp_f64 v[6:7], v[6:7], 1
	s_delay_alu instid0(VALU_DEP_3) | instskip(NEXT) | instid1(VALU_DEP_3)
	v_add_f64_e32 v[12:13], v[12:13], v[18:19]
	v_fmac_f64_e32 v[20:21], v[10:11], v[8:9]
	v_ldexp_f64 v[8:9], v[8:9], 1
	s_delay_alu instid0(VALU_DEP_3) | instskip(NEXT) | instid1(VALU_DEP_3)
	v_add_f64_e32 v[10:11], v[22:23], v[12:13]
	v_add_f64_e32 v[14:15], v[24:25], v[20:21]
	s_delay_alu instid0(VALU_DEP_2) | instskip(NEXT) | instid1(VALU_DEP_2)
	v_add_f64_e64 v[18:19], v[22:23], -v[10:11]
	v_mul_f64_e32 v[22:23], v[14:15], v[10:11]
	v_add_f64_e64 v[24:25], v[14:15], -v[24:25]
	s_delay_alu instid0(VALU_DEP_3) | instskip(NEXT) | instid1(VALU_DEP_3)
	v_add_f64_e32 v[12:13], v[12:13], v[18:19]
	v_fma_f64 v[18:19], v[14:15], v[10:11], -v[22:23]
	s_delay_alu instid0(VALU_DEP_3) | instskip(NEXT) | instid1(VALU_DEP_2)
	v_add_f64_e64 v[20:21], v[20:21], -v[24:25]
	v_fmac_f64_e32 v[18:19], v[14:15], v[12:13]
	v_cvt_f64_i32_e32 v[12:13], v1
	s_delay_alu instid0(VALU_DEP_2) | instskip(NEXT) | instid1(VALU_DEP_1)
	v_fmac_f64_e32 v[18:19], v[20:21], v[10:11]
	v_add_f64_e32 v[10:11], v[22:23], v[18:19]
	s_delay_alu instid0(VALU_DEP_1) | instskip(SKIP_2) | instid1(VALU_DEP_3)
	v_add_f64_e32 v[14:15], v[8:9], v[10:11]
	v_add_f64_e64 v[20:21], v[10:11], -v[22:23]
	v_mul_f64_e32 v[22:23], 0x3fe62e42fefa39ef, v[12:13]
	v_add_f64_e64 v[8:9], v[14:15], -v[8:9]
	s_delay_alu instid0(VALU_DEP_3) | instskip(NEXT) | instid1(VALU_DEP_3)
	v_add_f64_e64 v[18:19], v[18:19], -v[20:21]
	v_fma_f64 v[20:21], v[12:13], s[18:19], -v[22:23]
	s_delay_alu instid0(VALU_DEP_3) | instskip(NEXT) | instid1(VALU_DEP_3)
	v_add_f64_e64 v[8:9], v[10:11], -v[8:9]
	v_add_f64_e32 v[6:7], v[6:7], v[18:19]
	s_delay_alu instid0(VALU_DEP_3) | instskip(NEXT) | instid1(VALU_DEP_2)
	v_fmac_f64_e32 v[20:21], 0x3c7abc9e3b39803f, v[12:13]
	v_add_f64_e32 v[6:7], v[6:7], v[8:9]
	s_delay_alu instid0(VALU_DEP_2) | instskip(NEXT) | instid1(VALU_DEP_2)
	v_add_f64_e32 v[8:9], v[22:23], v[20:21]
	v_add_f64_e32 v[10:11], v[14:15], v[6:7]
	s_delay_alu instid0(VALU_DEP_2) | instskip(NEXT) | instid1(VALU_DEP_2)
	v_add_f64_e64 v[22:23], v[8:9], -v[22:23]
	v_add_f64_e32 v[12:13], v[8:9], v[10:11]
	v_add_f64_e64 v[14:15], v[10:11], -v[14:15]
	s_delay_alu instid0(VALU_DEP_3) | instskip(NEXT) | instid1(VALU_DEP_3)
	v_add_f64_e64 v[20:21], v[20:21], -v[22:23]
	v_add_f64_e64 v[18:19], v[12:13], -v[8:9]
	s_delay_alu instid0(VALU_DEP_3) | instskip(NEXT) | instid1(VALU_DEP_2)
	v_add_f64_e64 v[6:7], v[6:7], -v[14:15]
	v_add_f64_e64 v[24:25], v[12:13], -v[18:19]
	;; [unrolled: 1-line block ×3, first 2 shown]
	s_delay_alu instid0(VALU_DEP_3) | instskip(NEXT) | instid1(VALU_DEP_3)
	v_add_f64_e32 v[14:15], v[20:21], v[6:7]
	v_add_f64_e64 v[8:9], v[8:9], -v[24:25]
	s_delay_alu instid0(VALU_DEP_1) | instskip(NEXT) | instid1(VALU_DEP_3)
	v_add_f64_e32 v[8:9], v[10:11], v[8:9]
	v_add_f64_e64 v[10:11], v[14:15], -v[20:21]
	s_delay_alu instid0(VALU_DEP_2) | instskip(NEXT) | instid1(VALU_DEP_2)
	v_add_f64_e32 v[8:9], v[14:15], v[8:9]
	v_add_f64_e64 v[14:15], v[14:15], -v[10:11]
	v_add_f64_e64 v[6:7], v[6:7], -v[10:11]
	s_delay_alu instid0(VALU_DEP_3) | instskip(NEXT) | instid1(VALU_DEP_3)
	v_add_f64_e32 v[18:19], v[12:13], v[8:9]
	v_add_f64_e64 v[10:11], v[20:21], -v[14:15]
	v_mov_b64_e32 v[20:21], 0x3e928af3fca7ab0c
	s_delay_alu instid0(VALU_DEP_3) | instskip(NEXT) | instid1(VALU_DEP_3)
	v_add_f64_e64 v[12:13], v[18:19], -v[12:13]
	v_add_f64_e32 v[6:7], v[6:7], v[10:11]
	s_delay_alu instid0(VALU_DEP_2) | instskip(NEXT) | instid1(VALU_DEP_1)
	v_add_f64_e64 v[8:9], v[8:9], -v[12:13]
	v_add_f64_e32 v[6:7], v[6:7], v[8:9]
	s_delay_alu instid0(VALU_DEP_1) | instskip(NEXT) | instid1(VALU_DEP_1)
	v_add_f64_e32 v[8:9], v[18:19], v[6:7]
	v_add_f64_e64 v[10:11], v[8:9], -v[18:19]
	v_mul_f64_e32 v[12:13], v[2:3], v[8:9]
	s_delay_alu instid0(VALU_DEP_2) | instskip(NEXT) | instid1(VALU_DEP_2)
	v_add_f64_e64 v[6:7], v[6:7], -v[10:11]
	v_fma_f64 v[8:9], v[2:3], v[8:9], -v[12:13]
	v_cmp_class_f64_e64 vcc_lo, v[12:13], 0x204
	s_delay_alu instid0(VALU_DEP_2) | instskip(NEXT) | instid1(VALU_DEP_1)
	v_fmac_f64_e32 v[8:9], v[2:3], v[6:7]
	v_add_f64_e32 v[6:7], v[12:13], v[8:9]
	s_delay_alu instid0(VALU_DEP_1) | instskip(SKIP_1) | instid1(VALU_DEP_2)
	v_dual_cndmask_b32 v11, v7, v13 :: v_dual_cndmask_b32 v10, v6, v12
	v_add_f64_e64 v[6:7], v[6:7], -v[12:13]
	v_mul_f64_e32 v[14:15], 0x3ff71547652b82fe, v[10:11]
	v_cmp_nlt_f64_e64 s3, 0x40900000, v[10:11]
	v_cmp_neq_f64_e64 vcc_lo, 0x7ff00000, |v[10:11]|
	v_cmp_ngt_f64_e64 s4, 0xc090cc00, v[10:11]
	v_add_f64_e64 v[6:7], v[8:9], -v[6:7]
	v_trunc_f64_e32 v[8:9], v[2:3]
	v_rndne_f64_e32 v[14:15], v[14:15]
	s_delay_alu instid0(VALU_DEP_3) | instskip(SKIP_1) | instid1(VALU_DEP_2)
	v_dual_cndmask_b32 v7, 0, v7 :: v_dual_cndmask_b32 v6, 0, v6
	s_and_b32 vcc_lo, s4, s3
	v_fmamk_f64 v[18:19], v[14:15], 0xbfe62e42fefa39ef, v[10:11]
	v_cvt_i32_f64_e32 v1, v[14:15]
	s_delay_alu instid0(VALU_DEP_2) | instskip(NEXT) | instid1(VALU_DEP_1)
	v_fmac_f64_e32 v[18:19], 0xbc7abc9e3b39803f, v[14:15]
	v_fmamk_f64 v[22:23], v[18:19], 0x3e5ade156a5dcb37, v[20:21]
	s_delay_alu instid0(VALU_DEP_1) | instskip(NEXT) | instid1(VALU_DEP_1)
	v_fmaak_f64 v[22:23], v[18:19], v[22:23], 0x3ec71dee623fde64
	v_fmaak_f64 v[22:23], v[18:19], v[22:23], 0x3efa01997c89e6b0
	s_delay_alu instid0(VALU_DEP_1) | instskip(NEXT) | instid1(VALU_DEP_1)
	v_fmaak_f64 v[22:23], v[18:19], v[22:23], 0x3f2a01a014761f6e
	v_fmaak_f64 v[22:23], v[18:19], v[22:23], 0x3f56c16c1852b7b0
	s_delay_alu instid0(VALU_DEP_1) | instskip(NEXT) | instid1(VALU_DEP_1)
	v_fmaak_f64 v[22:23], v[18:19], v[22:23], 0x3f81111111122322
	v_fmaak_f64 v[22:23], v[18:19], v[22:23], 0x3fa55555555502a1
	s_delay_alu instid0(VALU_DEP_1) | instskip(NEXT) | instid1(VALU_DEP_1)
	v_fmaak_f64 v[22:23], v[18:19], v[22:23], 0x3fc5555555555511
	v_fmaak_f64 v[22:23], v[18:19], v[22:23], 0x3fe000000000000b
	s_delay_alu instid0(VALU_DEP_1) | instskip(NEXT) | instid1(VALU_DEP_1)
	v_fma_f64 v[22:23], v[18:19], v[22:23], 1.0
	v_fma_f64 v[14:15], v[18:19], v[22:23], 1.0
	s_delay_alu instid0(VALU_DEP_1) | instskip(SKIP_1) | instid1(VALU_DEP_2)
	v_ldexp_f64 v[12:13], v[14:15], v1
	v_mul_f64_e32 v[14:15], 0.5, v[2:3]
	v_cndmask_b32_e64 v1, 0x7ff00000, v13, s3
	s_delay_alu instid0(VALU_DEP_2) | instskip(NEXT) | instid1(VALU_DEP_4)
	v_trunc_f64_e32 v[10:11], v[14:15]
	v_cndmask_b32_e32 v12, 0, v12, vcc_lo
	v_cmp_eq_f64_e32 vcc_lo, v[8:9], v[2:3]
	s_delay_alu instid0(VALU_DEP_4) | instskip(NEXT) | instid1(VALU_DEP_1)
	v_cndmask_b32_e64 v13, 0, v1, s4
	v_fma_f64 v[6:7], v[12:13], v[6:7], v[12:13]
	v_cmp_class_f64_e64 s4, v[12:13], 0x204
	v_cmp_neq_f64_e64 s3, v[10:11], v[14:15]
	s_delay_alu instid0(VALU_DEP_2) | instskip(SKIP_1) | instid1(VALU_DEP_2)
	v_dual_cndmask_b32 v1, v6, v12, s4 :: v_dual_cndmask_b32 v6, v7, v13, s4
	v_cmp_gt_f64_e64 s4, 0, v[2:3]
	v_cndmask_b32_e32 v8, 0, v1, vcc_lo
	s_and_b32 s5, vcc_lo, s3
	s_delay_alu instid0(SALU_CYCLE_1) | instskip(SKIP_4) | instid1(VALU_DEP_2)
	s_and_b32 s3, s5, exec_lo
	s_cselect_b32 s3, s7, 0x3ff00000
	s_xor_b32 s14, s14, s15
	v_bfi_b32 v6, 0x7fffffff, v6, s3
	v_cmp_neq_f64_e64 s3, s[10:11], 1.0
	v_cndmask_b32_e32 v7, 0x7ff80000, v6, vcc_lo
	v_cmp_lt_f64_e64 vcc_lo, s[6:7], 0
	s_delay_alu instid0(VALU_DEP_3)
	v_cndmask_b32_e64 v5, 0x3ff00000, v5, s3
	v_cndmask_b32_e64 v4, 0, v4, s3
	s_and_b32 s3, s14, exec_lo
	s_cselect_b32 s3, 0, 0x7ff00000
	s_and_b32 s14, s22, exec_lo
	v_cmp_class_f64_e64 s14, v[2:3], 0x204
	v_dual_cndmask_b32 v1, v1, v8 :: v_dual_cndmask_b32 v6, v6, v7
	v_cmp_neq_f64_e32 vcc_lo, 0, v[4:5]
	s_cselect_b32 s3, s3, 0x3ff00000
	s_xor_b32 s4, s4, s23
	s_delay_alu instid0(VALU_DEP_2)
	v_cndmask_b32_e64 v6, v6, s3, s14
	s_or_b32 s3, s23, s24
	s_and_b32 s4, s4, exec_lo
	s_cselect_b32 s4, 0, 0x7ff00000
	s_and_b32 s5, s5, exec_lo
	s_cselect_b32 s5, s7, 0
	s_delay_alu instid0(SALU_CYCLE_1) | instskip(SKIP_1) | instid1(VALU_DEP_1)
	v_mov_b32_e32 v7, s5
	s_or_b32 s5, s3, s14
	v_bfi_b32 v7, 0x7fffffff, s4, v7
	s_delay_alu instid0(VALU_DEP_1) | instskip(SKIP_3) | instid1(SALU_CYCLE_1)
	v_cndmask_b32_e64 v7, v6, v7, s3
	s_and_b32 s3, vcc_lo, exec_lo
	s_cselect_b32 s15, s11, 0x3ff00000
	s_cselect_b32 s14, s10, 0
	v_frexp_mant_f64_e64 v[8:9], |s[14:15]|
	v_cmp_class_f64_e64 s22, s[14:15], 0x204
	s_delay_alu instid0(VALU_DEP_2) | instskip(SKIP_3) | instid1(VALU_DEP_1)
	v_cmp_gt_f64_e32 vcc_lo, s[20:21], v[8:9]
	v_cmp_neq_f64_e64 s20, |s[14:15]|, 1.0
	v_cmp_eq_f64_e64 s21, s[14:15], 0
	v_cndmask_b32_e64 v6, 0, 1, vcc_lo
	v_ldexp_f64 v[8:9], v[8:9], v6
	v_frexp_exp_i32_f64_e32 v6, s[14:15]
	s_delay_alu instid0(VALU_DEP_2) | instskip(SKIP_1) | instid1(VALU_DEP_3)
	v_add_f64_e32 v[10:11], 1.0, v[8:9]
	v_add_f64_e32 v[18:19], -1.0, v[8:9]
	v_subrev_co_ci_u32_e64 v6, null, 0, v6, vcc_lo
	s_delay_alu instid0(VALU_DEP_3) | instskip(SKIP_1) | instid1(VALU_DEP_1)
	v_rcp_f64_e32 v[12:13], v[10:11]
	v_add_f64_e32 v[22:23], -1.0, v[10:11]
	v_add_f64_e64 v[8:9], v[8:9], -v[22:23]
	s_delay_alu instid0(TRANS32_DEP_1) | instskip(NEXT) | instid1(VALU_DEP_1)
	v_fma_f64 v[14:15], -v[10:11], v[12:13], 1.0
	v_fmac_f64_e32 v[12:13], v[14:15], v[12:13]
	s_delay_alu instid0(VALU_DEP_1) | instskip(NEXT) | instid1(VALU_DEP_1)
	v_fma_f64 v[14:15], -v[10:11], v[12:13], 1.0
	v_fmac_f64_e32 v[12:13], v[14:15], v[12:13]
	s_delay_alu instid0(VALU_DEP_1) | instskip(NEXT) | instid1(VALU_DEP_1)
	v_mul_f64_e32 v[14:15], v[18:19], v[12:13]
	v_mul_f64_e32 v[24:25], v[10:11], v[14:15]
	s_delay_alu instid0(VALU_DEP_1) | instskip(NEXT) | instid1(VALU_DEP_1)
	v_fma_f64 v[10:11], v[14:15], v[10:11], -v[24:25]
	v_fmac_f64_e32 v[10:11], v[14:15], v[8:9]
	s_delay_alu instid0(VALU_DEP_1) | instskip(NEXT) | instid1(VALU_DEP_1)
	v_add_f64_e32 v[8:9], v[24:25], v[10:11]
	v_add_f64_e64 v[22:23], v[18:19], -v[8:9]
	v_add_f64_e64 v[24:25], v[8:9], -v[24:25]
	s_delay_alu instid0(VALU_DEP_2) | instskip(NEXT) | instid1(VALU_DEP_2)
	v_add_f64_e64 v[18:19], v[18:19], -v[22:23]
	v_add_f64_e64 v[10:11], v[24:25], -v[10:11]
	s_delay_alu instid0(VALU_DEP_2) | instskip(NEXT) | instid1(VALU_DEP_1)
	v_add_f64_e64 v[8:9], v[18:19], -v[8:9]
	v_add_f64_e32 v[8:9], v[10:11], v[8:9]
	s_delay_alu instid0(VALU_DEP_1) | instskip(SKIP_1) | instid1(VALU_DEP_2)
	v_add_f64_e32 v[8:9], v[22:23], v[8:9]
	v_mov_b64_e32 v[22:23], 0x3fbe25e43abe935a
	v_mul_f64_e32 v[8:9], v[12:13], v[8:9]
	s_delay_alu instid0(VALU_DEP_1) | instskip(NEXT) | instid1(VALU_DEP_1)
	v_add_f64_e32 v[10:11], v[14:15], v[8:9]
	v_add_f64_e64 v[12:13], v[10:11], -v[14:15]
	v_mul_f64_e32 v[14:15], v[10:11], v[10:11]
	s_delay_alu instid0(VALU_DEP_2) | instskip(NEXT) | instid1(VALU_DEP_2)
	v_add_f64_e64 v[8:9], v[8:9], -v[12:13]
	v_fma_f64 v[12:13], v[10:11], v[10:11], -v[14:15]
	s_delay_alu instid0(VALU_DEP_2) | instskip(NEXT) | instid1(VALU_DEP_1)
	v_add_f64_e32 v[18:19], v[8:9], v[8:9]
	v_fmac_f64_e32 v[12:13], v[10:11], v[18:19]
	s_delay_alu instid0(VALU_DEP_1) | instskip(NEXT) | instid1(VALU_DEP_1)
	v_add_f64_e32 v[18:19], v[14:15], v[12:13]
	v_fmac_f64_e32 v[16:17], 0x3fbdee674222de17, v[18:19]
	v_add_f64_e64 v[14:15], v[18:19], -v[14:15]
	v_mul_f64_e32 v[26:27], v[10:11], v[18:19]
	s_delay_alu instid0(VALU_DEP_3) | instskip(SKIP_1) | instid1(VALU_DEP_4)
	v_fmac_f64_e32 v[22:23], v[18:19], v[16:17]
	v_mov_b64_e32 v[16:17], 0x3fc110ef47e6c9c2
	v_add_f64_e64 v[12:13], v[12:13], -v[14:15]
	s_delay_alu instid0(VALU_DEP_2) | instskip(SKIP_1) | instid1(VALU_DEP_1)
	v_fmac_f64_e32 v[16:17], v[18:19], v[22:23]
	v_mov_b64_e32 v[22:23], 0x3fc3b13bcfa74449
	v_fmac_f64_e32 v[22:23], v[18:19], v[16:17]
	v_mov_b64_e32 v[16:17], 0x3fc745d171bf3c30
	s_delay_alu instid0(VALU_DEP_1) | instskip(SKIP_1) | instid1(VALU_DEP_1)
	v_fmac_f64_e32 v[16:17], v[18:19], v[22:23]
	v_mov_b64_e32 v[22:23], 0x3fcc71c71c7792ce
	v_fmac_f64_e32 v[22:23], v[18:19], v[16:17]
	v_mov_b64_e32 v[16:17], 0x3fd24924924920da
	s_delay_alu instid0(VALU_DEP_1) | instskip(SKIP_1) | instid1(VALU_DEP_1)
	v_fmac_f64_e32 v[16:17], v[18:19], v[22:23]
	v_mov_b64_e32 v[22:23], 0x3fd999999999999c
	v_fmac_f64_e32 v[22:23], v[18:19], v[16:17]
	s_delay_alu instid0(VALU_DEP_1) | instskip(NEXT) | instid1(VALU_DEP_1)
	v_mul_f64_e32 v[16:17], v[18:19], v[22:23]
	v_fma_f64 v[14:15], v[18:19], v[22:23], -v[16:17]
	s_delay_alu instid0(VALU_DEP_1) | instskip(NEXT) | instid1(VALU_DEP_1)
	v_fmac_f64_e32 v[14:15], v[12:13], v[22:23]
	v_add_f64_e32 v[22:23], v[16:17], v[14:15]
	s_delay_alu instid0(VALU_DEP_1) | instskip(SKIP_1) | instid1(VALU_DEP_2)
	v_add_f64_e32 v[24:25], 0x3fe5555555555555, v[22:23]
	v_add_f64_e64 v[16:17], v[22:23], -v[16:17]
	v_add_f64_e32 v[28:29], 0xbfe5555555555555, v[24:25]
	s_delay_alu instid0(VALU_DEP_2) | instskip(SKIP_1) | instid1(VALU_DEP_3)
	v_add_f64_e64 v[14:15], v[14:15], -v[16:17]
	v_fma_f64 v[16:17], v[18:19], v[10:11], -v[26:27]
	v_add_f64_e64 v[22:23], v[22:23], -v[28:29]
	s_delay_alu instid0(VALU_DEP_3) | instskip(NEXT) | instid1(VALU_DEP_3)
	v_add_f64_e32 v[14:15], 0x3c8543b0d5df274d, v[14:15]
	v_fmac_f64_e32 v[16:17], v[18:19], v[8:9]
	v_ldexp_f64 v[8:9], v[8:9], 1
	s_delay_alu instid0(VALU_DEP_3) | instskip(NEXT) | instid1(VALU_DEP_3)
	v_add_f64_e32 v[14:15], v[14:15], v[22:23]
	v_fmac_f64_e32 v[16:17], v[12:13], v[10:11]
	v_ldexp_f64 v[10:11], v[10:11], 1
	s_delay_alu instid0(VALU_DEP_3) | instskip(NEXT) | instid1(VALU_DEP_3)
	v_add_f64_e32 v[12:13], v[24:25], v[14:15]
	v_add_f64_e32 v[18:19], v[26:27], v[16:17]
	s_delay_alu instid0(VALU_DEP_2) | instskip(NEXT) | instid1(VALU_DEP_2)
	v_add_f64_e64 v[22:23], v[24:25], -v[12:13]
	v_mul_f64_e32 v[24:25], v[18:19], v[12:13]
	v_add_f64_e64 v[26:27], v[18:19], -v[26:27]
	s_delay_alu instid0(VALU_DEP_3) | instskip(NEXT) | instid1(VALU_DEP_3)
	v_add_f64_e32 v[14:15], v[14:15], v[22:23]
	v_fma_f64 v[22:23], v[18:19], v[12:13], -v[24:25]
	s_delay_alu instid0(VALU_DEP_3) | instskip(NEXT) | instid1(VALU_DEP_2)
	v_add_f64_e64 v[16:17], v[16:17], -v[26:27]
	v_fmac_f64_e32 v[22:23], v[18:19], v[14:15]
	v_cvt_f64_i32_e32 v[14:15], v6
	s_delay_alu instid0(VALU_DEP_2) | instskip(NEXT) | instid1(VALU_DEP_1)
	v_fmac_f64_e32 v[22:23], v[16:17], v[12:13]
	v_add_f64_e32 v[12:13], v[24:25], v[22:23]
	s_delay_alu instid0(VALU_DEP_1) | instskip(SKIP_2) | instid1(VALU_DEP_3)
	v_add_f64_e32 v[16:17], v[10:11], v[12:13]
	v_add_f64_e64 v[18:19], v[12:13], -v[24:25]
	v_mul_f64_e32 v[24:25], 0x3fe62e42fefa39ef, v[14:15]
	v_add_f64_e64 v[10:11], v[16:17], -v[10:11]
	s_delay_alu instid0(VALU_DEP_3) | instskip(NEXT) | instid1(VALU_DEP_3)
	v_add_f64_e64 v[18:19], v[22:23], -v[18:19]
	v_fma_f64 v[22:23], v[14:15], s[18:19], -v[24:25]
	v_cmp_lt_f64_e64 s19, |s[14:15]|, 1.0
	s_delay_alu instid0(VALU_DEP_4) | instskip(NEXT) | instid1(VALU_DEP_4)
	v_add_f64_e64 v[10:11], v[12:13], -v[10:11]
	v_add_f64_e32 v[8:9], v[8:9], v[18:19]
	s_delay_alu instid0(VALU_DEP_4) | instskip(NEXT) | instid1(VALU_DEP_2)
	v_fmac_f64_e32 v[22:23], 0x3c7abc9e3b39803f, v[14:15]
	v_add_f64_e32 v[8:9], v[8:9], v[10:11]
	s_delay_alu instid0(VALU_DEP_2) | instskip(NEXT) | instid1(VALU_DEP_2)
	v_add_f64_e32 v[10:11], v[24:25], v[22:23]
	v_add_f64_e32 v[12:13], v[16:17], v[8:9]
	s_delay_alu instid0(VALU_DEP_2) | instskip(NEXT) | instid1(VALU_DEP_2)
	v_add_f64_e64 v[24:25], v[10:11], -v[24:25]
	v_add_f64_e32 v[14:15], v[10:11], v[12:13]
	v_add_f64_e64 v[16:17], v[12:13], -v[16:17]
	s_delay_alu instid0(VALU_DEP_3) | instskip(NEXT) | instid1(VALU_DEP_3)
	v_add_f64_e64 v[22:23], v[22:23], -v[24:25]
	v_add_f64_e64 v[18:19], v[14:15], -v[10:11]
	s_delay_alu instid0(VALU_DEP_3) | instskip(NEXT) | instid1(VALU_DEP_2)
	v_add_f64_e64 v[8:9], v[8:9], -v[16:17]
	v_add_f64_e64 v[26:27], v[14:15], -v[18:19]
	;; [unrolled: 1-line block ×3, first 2 shown]
	s_delay_alu instid0(VALU_DEP_3) | instskip(NEXT) | instid1(VALU_DEP_3)
	v_add_f64_e32 v[16:17], v[22:23], v[8:9]
	v_add_f64_e64 v[10:11], v[10:11], -v[26:27]
	s_delay_alu instid0(VALU_DEP_1) | instskip(NEXT) | instid1(VALU_DEP_3)
	v_add_f64_e32 v[10:11], v[12:13], v[10:11]
	v_add_f64_e64 v[12:13], v[16:17], -v[22:23]
	s_delay_alu instid0(VALU_DEP_2) | instskip(NEXT) | instid1(VALU_DEP_2)
	v_add_f64_e32 v[10:11], v[16:17], v[10:11]
	v_add_f64_e64 v[16:17], v[16:17], -v[12:13]
	v_add_f64_e64 v[8:9], v[8:9], -v[12:13]
	s_delay_alu instid0(VALU_DEP_3) | instskip(NEXT) | instid1(VALU_DEP_3)
	v_add_f64_e32 v[18:19], v[14:15], v[10:11]
	v_add_f64_e64 v[12:13], v[22:23], -v[16:17]
	v_mov_b64_e32 v[22:23], 0x3ec71dee623fde64
	s_delay_alu instid0(VALU_DEP_3) | instskip(NEXT) | instid1(VALU_DEP_3)
	v_add_f64_e64 v[14:15], v[18:19], -v[14:15]
	v_add_f64_e32 v[8:9], v[8:9], v[12:13]
	s_delay_alu instid0(VALU_DEP_2) | instskip(NEXT) | instid1(VALU_DEP_1)
	v_add_f64_e64 v[10:11], v[10:11], -v[14:15]
	v_add_f64_e32 v[8:9], v[8:9], v[10:11]
	s_delay_alu instid0(VALU_DEP_1) | instskip(NEXT) | instid1(VALU_DEP_1)
	v_add_f64_e32 v[10:11], v[18:19], v[8:9]
	v_add_f64_e64 v[12:13], v[10:11], -v[18:19]
	v_mul_f64_e32 v[14:15], v[4:5], v[10:11]
	s_delay_alu instid0(VALU_DEP_2) | instskip(NEXT) | instid1(VALU_DEP_2)
	v_add_f64_e64 v[8:9], v[8:9], -v[12:13]
	v_fma_f64 v[10:11], v[4:5], v[10:11], -v[14:15]
	v_cmp_class_f64_e64 vcc_lo, v[14:15], 0x204
	s_delay_alu instid0(VALU_DEP_2) | instskip(NEXT) | instid1(VALU_DEP_1)
	v_fmac_f64_e32 v[10:11], v[4:5], v[8:9]
	v_add_f64_e32 v[8:9], v[14:15], v[10:11]
	s_delay_alu instid0(VALU_DEP_1) | instskip(SKIP_1) | instid1(VALU_DEP_2)
	v_dual_cndmask_b32 v13, v9, v15 :: v_dual_cndmask_b32 v12, v8, v14
	v_add_f64_e64 v[8:9], v[8:9], -v[14:15]
	v_mul_f64_e32 v[16:17], 0x3ff71547652b82fe, v[12:13]
	v_cmp_nlt_f64_e64 s3, 0x40900000, v[12:13]
	v_cmp_neq_f64_e64 vcc_lo, 0x7ff00000, |v[12:13]|
	v_cmp_ngt_f64_e64 s4, 0xc090cc00, v[12:13]
	v_add_f64_e64 v[8:9], v[10:11], -v[8:9]
	v_trunc_f64_e32 v[10:11], v[4:5]
	v_rndne_f64_e32 v[16:17], v[16:17]
	s_delay_alu instid0(VALU_DEP_3) | instskip(SKIP_1) | instid1(VALU_DEP_2)
	v_dual_cndmask_b32 v9, 0, v9 :: v_dual_cndmask_b32 v8, 0, v8
	s_and_b32 vcc_lo, s4, s3
	v_fmamk_f64 v[18:19], v[16:17], 0xbfe62e42fefa39ef, v[12:13]
	v_cvt_i32_f64_e32 v6, v[16:17]
	s_delay_alu instid0(VALU_DEP_2) | instskip(NEXT) | instid1(VALU_DEP_1)
	v_fmac_f64_e32 v[18:19], 0xbc7abc9e3b39803f, v[16:17]
	v_fmac_f64_e32 v[20:21], 0x3e5ade156a5dcb37, v[18:19]
	s_delay_alu instid0(VALU_DEP_1) | instskip(SKIP_1) | instid1(VALU_DEP_1)
	v_fmac_f64_e32 v[22:23], v[18:19], v[20:21]
	v_mov_b64_e32 v[20:21], 0x3efa01997c89e6b0
	v_fmac_f64_e32 v[20:21], v[18:19], v[22:23]
	v_mov_b64_e32 v[22:23], 0x3f2a01a014761f6e
	s_delay_alu instid0(VALU_DEP_1) | instskip(SKIP_1) | instid1(VALU_DEP_1)
	v_fmac_f64_e32 v[22:23], v[18:19], v[20:21]
	v_mov_b64_e32 v[20:21], 0x3f56c16c1852b7b0
	v_fmac_f64_e32 v[20:21], v[18:19], v[22:23]
	v_mov_b64_e32 v[22:23], 0x3f81111111122322
	;; [unrolled: 5-line block ×3, first 2 shown]
	s_delay_alu instid0(VALU_DEP_1) | instskip(SKIP_1) | instid1(VALU_DEP_1)
	v_fmac_f64_e32 v[22:23], v[18:19], v[20:21]
	v_mov_b64_e32 v[20:21], 0x3fe000000000000b
	v_fmac_f64_e32 v[20:21], v[18:19], v[22:23]
	s_delay_alu instid0(VALU_DEP_1) | instskip(NEXT) | instid1(VALU_DEP_1)
	v_fma_f64 v[20:21], v[18:19], v[20:21], 1.0
	v_fma_f64 v[16:17], v[18:19], v[20:21], 1.0
	s_delay_alu instid0(VALU_DEP_1) | instskip(SKIP_1) | instid1(VALU_DEP_2)
	v_ldexp_f64 v[14:15], v[16:17], v6
	v_mul_f64_e32 v[16:17], 0.5, v[4:5]
	v_cndmask_b32_e64 v6, 0x7ff00000, v15, s3
	s_delay_alu instid0(VALU_DEP_2) | instskip(NEXT) | instid1(VALU_DEP_4)
	v_trunc_f64_e32 v[12:13], v[16:17]
	v_cndmask_b32_e32 v14, 0, v14, vcc_lo
	v_cmp_eq_f64_e32 vcc_lo, v[10:11], v[4:5]
	s_delay_alu instid0(VALU_DEP_4) | instskip(NEXT) | instid1(VALU_DEP_1)
	v_cndmask_b32_e64 v15, 0, v6, s4
	v_fma_f64 v[8:9], v[14:15], v[8:9], v[14:15]
	v_cmp_class_f64_e64 s4, v[14:15], 0x204
	v_cmp_neq_f64_e64 s3, v[12:13], v[16:17]
	s_delay_alu instid0(VALU_DEP_2) | instskip(SKIP_1) | instid1(VALU_DEP_2)
	v_dual_cndmask_b32 v6, v8, v14, s4 :: v_dual_cndmask_b32 v8, v9, v15, s4
	v_cmp_neq_f64_e64 s4, v[4:5], |v[4:5]|
	v_cndmask_b32_e32 v10, 0, v6, vcc_lo
	s_and_b32 s18, vcc_lo, s3
	s_delay_alu instid0(SALU_CYCLE_1) | instskip(SKIP_1) | instid1(SALU_CYCLE_1)
	s_and_b32 s3, s18, exec_lo
	s_cselect_b32 s3, s15, 0x3ff00000
	v_bfi_b32 v8, 0x7fffffff, v8, s3
	v_cmp_gt_f64_e64 s3, 0, v[4:5]
	s_delay_alu instid0(VALU_DEP_2) | instskip(SKIP_2) | instid1(SALU_CYCLE_1)
	v_cndmask_b32_e32 v9, 0x7ff80000, v8, vcc_lo
	v_cmp_lt_f64_e64 vcc_lo, s[14:15], 0
	s_xor_b32 s4, s4, s19
	s_and_b32 s4, s4, exec_lo
	s_cselect_b32 s4, 0, 0x7ff00000
	s_and_b32 s19, s20, exec_lo
	v_cmp_class_f64_e64 s19, v[4:5], 0x204
	s_cselect_b32 s4, s4, 0x3ff00000
	s_xor_b32 s3, s3, s21
	v_dual_cndmask_b32 v8, v8, v9, vcc_lo :: v_dual_cndmask_b32 v6, v6, v10, vcc_lo
	s_or_b32 vcc_lo, s21, s22
	s_and_b32 s3, s3, exec_lo
	s_cselect_b32 s3, 0, 0x7ff00000
	s_delay_alu instid0(VALU_DEP_1) | instskip(SKIP_2) | instid1(SALU_CYCLE_1)
	v_cndmask_b32_e64 v8, v8, s4, s19
	s_and_b32 s4, s18, exec_lo
	s_cselect_b32 s4, s15, 0
	v_mov_b32_e32 v9, s4
	s_delay_alu instid0(VALU_DEP_1) | instskip(SKIP_1) | instid1(VALU_DEP_1)
	v_bfi_b32 v9, 0x7fffffff, s3, v9
	s_or_b32 s3, vcc_lo, s19
	v_cndmask_b32_e32 v9, v8, v9, vcc_lo
	v_cndmask_b32_e64 v8, v6, 0, s3
	v_cmp_o_f64_e32 vcc_lo, s[14:15], v[4:5]
	s_add_nc_u64 s[14:15], s[0:1], s[16:17]
	s_mul_u64 s[16:17], s[16:17], 3
	v_cndmask_b32_e64 v6, v1, 0, s5
	v_add_f64_e64 v[8:9], -v[8:9], 1.0
	s_add_nc_u64 s[16:17], s[14:15], s[16:17]
	s_clause 0x4
	s_load_b32 s4, s[16:17], 0x800
	s_load_b64 s[14:15], s[0:1], s28 offset:0x0 scale_offset
	s_load_b64 s[20:21], s[0:1], s28 offset:0x120 scale_offset
	;; [unrolled: 1-line block ×4, first 2 shown]
	v_add_f64_e64 v[6:7], -v[6:7], 1.0
	s_wait_xcnt 0x0
	s_mov_b32 s17, 0
	s_delay_alu instid0(VALU_DEP_2) | instskip(NEXT) | instid1(VALU_DEP_3)
	v_cndmask_b32_e32 v5, 0x7ff80000, v9, vcc_lo
	v_cndmask_b32_e32 v4, 0, v8, vcc_lo
	s_delay_alu instid0(VALU_DEP_1)
	v_cmp_gt_f64_e32 vcc_lo, 0x10000000, v[4:5]
	s_and_b32 s3, vcc_lo, exec_lo
	s_cselect_b32 s3, 0x100, 0
	v_cmp_o_f64_e32 vcc_lo, s[6:7], v[2:3]
	v_ldexp_f64 v[4:5], v[4:5], s3
	s_cselect_b32 s3, 0xffffff80, 0
	s_wait_kmcnt 0x0
	s_ashr_i32 s5, s4, 31
	s_delay_alu instid0(SALU_CYCLE_1)
	s_lshl_b64 s[6:7], s[4:5], 19
	s_lshl_b64 s[4:5], s[4:5], 16
	s_add_nc_u64 s[30:31], s[20:21], s[6:7]
	s_add_nc_u64 s[28:29], s[14:15], s[6:7]
	s_and_b32 s16, s30, 31
	s_and_b64 s[38:39], s[28:29], 31
	s_add_nc_u64 s[34:35], s[22:23], s[6:7]
	s_cmp_lg_u64 s[16:17], 0
	s_add_nc_u64 s[36:37], s[24:25], s[6:7]
	s_cselect_b32 s33, -1, 0
	s_or_b32 s16, s36, s34
	s_delay_alu instid0(SALU_CYCLE_1) | instskip(NEXT) | instid1(SALU_CYCLE_1)
	s_and_b32 s16, s16, 31
	s_cmp_lg_u32 s16, 0
	s_load_b128 s[16:19], s[0:1], 0xd30
	s_cselect_b32 s42, -1, 0
	s_and_b64 s[40:41], s[26:27], 3
	s_or_b32 s33, s42, s33
	s_or_b64 s[38:39], s[38:39], s[40:41]
	s_sub_nc_u64 s[26:27], s[26:27], s[4:5]
	s_cmp_lg_u64 s[38:39], 0
	s_cselect_b32 s38, -1, 0
	s_delay_alu instid0(SALU_CYCLE_1) | instskip(SKIP_1) | instid1(VALU_DEP_2)
	s_or_b32 s33, s33, s38
	v_cndmask_b32_e32 v49, 0x7ff80000, v7, vcc_lo
	v_rsq_f64_e32 v[8:9], v[4:5]
	v_cndmask_b32_e32 v48, 0, v6, vcc_lo
	s_and_not1_b32 vcc_lo, exec_lo, s33
	s_delay_alu instid0(TRANS32_DEP_1) | instskip(SKIP_1) | instid1(VALU_DEP_1)
	v_mul_f64_e32 v[10:11], v[4:5], v[8:9]
	v_mul_f64_e32 v[8:9], 0.5, v[8:9]
	v_fma_f64 v[12:13], -v[8:9], v[10:11], 0.5
	s_delay_alu instid0(VALU_DEP_1) | instskip(SKIP_1) | instid1(VALU_DEP_2)
	v_fmac_f64_e32 v[10:11], v[10:11], v[12:13]
	v_fmac_f64_e32 v[8:9], v[8:9], v[12:13]
	v_fma_f64 v[12:13], -v[10:11], v[10:11], v[4:5]
	s_delay_alu instid0(VALU_DEP_1) | instskip(NEXT) | instid1(VALU_DEP_1)
	v_fmac_f64_e32 v[10:11], v[12:13], v[8:9]
	v_fma_f64 v[12:13], -v[10:11], v[10:11], v[4:5]
	s_delay_alu instid0(VALU_DEP_1) | instskip(NEXT) | instid1(VALU_DEP_1)
	v_fmac_f64_e32 v[10:11], v[12:13], v[8:9]
	v_ldexp_f64 v[2:3], v[10:11], s3
	v_cmp_class_f64_e64 s3, v[4:5], 0x260
	s_delay_alu instid0(VALU_DEP_1)
	v_dual_cndmask_b32 v47, v3, v5, s3 :: v_dual_cndmask_b32 v46, v2, v4, s3
	s_mov_b32 s3, -1
	s_cbranch_vccz .LBB1_20
; %bb.6:
	v_min_i64 v[50:51], 0x10000, s[26:27]
	v_dual_mov_b32 v53, 0 :: v_dual_lshlrev_b32 v52, 2, v0
	s_mov_b32 s33, exec_lo
	s_delay_alu instid0(VALU_DEP_1)
	v_cmpx_lt_i64_e64 v[52:53], v[50:51]
	s_cbranch_execz .LBB1_19
; %bb.7:
	v_div_scale_f64 v[2:3], null, v[48:49], v[48:49], v[44:45]
	v_div_scale_f64 v[8:9], vcc_lo, v[44:45], v[48:49], v[44:45]
	s_wait_kmcnt 0x0
	v_cmp_neq_f64_e64 s3, s[16:17], 0
	v_mul_f64_e32 v[56:57], s[16:17], v[44:45]
	s_load_b32 s4, s[0:1], 0xd64
	s_cmp_lg_u64 s[12:13], 0
	v_lshlrev_b32_e32 v52, 5, v0
	s_cselect_b32 s42, -1, 0
	s_mov_b32 s39, 0
	v_mov_b32_e32 v1, v53
	s_mov_b32 s41, s39
	s_mov_b32 s43, s39
	s_delay_alu instid0(VALU_DEP_1) | instskip(SKIP_2) | instid1(SALU_CYCLE_1)
	v_mov_b64_e32 v[58:59], v[0:1]
	s_wait_kmcnt 0x0
	s_and_b32 s38, s4, 0xffff
	s_lshl_b32 s40, s38, 5
	v_rcp_f64_e32 v[4:5], v[2:3]
	v_nop
	s_delay_alu instid0(TRANS32_DEP_1) | instskip(NEXT) | instid1(VALU_DEP_1)
	v_fma_f64 v[6:7], -v[2:3], v[4:5], 1.0
	v_fmac_f64_e32 v[4:5], v[4:5], v[6:7]
	s_delay_alu instid0(VALU_DEP_1) | instskip(NEXT) | instid1(VALU_DEP_1)
	v_fma_f64 v[6:7], -v[2:3], v[4:5], 1.0
	v_fmac_f64_e32 v[4:5], v[4:5], v[6:7]
	s_delay_alu instid0(VALU_DEP_1) | instskip(NEXT) | instid1(VALU_DEP_1)
	v_mul_f64_e32 v[6:7], v[8:9], v[4:5]
	v_fma_f64 v[2:3], -v[2:3], v[6:7], v[8:9]
	s_delay_alu instid0(VALU_DEP_1) | instskip(NEXT) | instid1(VALU_DEP_1)
	v_div_fmas_f64 v[2:3], v[2:3], v[4:5], v[6:7]
	v_div_fixup_f64 v[54:55], v[2:3], v[48:49], v[44:45]
	s_branch .LBB1_9
.LBB1_8:                                ;   in Loop: Header=BB1_9 Depth=1
	v_add_nc_u64_e32 v[58:59], s[38:39], v[58:59]
	s_add_nc_u64 s[36:37], s[36:37], s[40:41]
	s_add_nc_u64 s[28:29], s[28:29], s[40:41]
	;; [unrolled: 1-line block ×4, first 2 shown]
	s_clause 0x1
	global_store_b128 v[62:63], v[40:43], off
	global_store_b128 v[62:63], v[36:39], off offset:16
	s_clause 0x1
	global_store_b128 v[60:61], v[30:33], off
	global_store_b128 v[60:61], v[22:25], off offset:16
	s_wait_xcnt 0x4
	v_lshlrev_b64_e32 v[2:3], 2, v[58:59]
	s_delay_alu instid0(VALU_DEP_1)
	v_cmp_ge_i64_e32 vcc_lo, v[2:3], v[50:51]
	s_or_b32 s43, vcc_lo, s43
	s_wait_xcnt 0x0
	s_and_not1_b32 exec_lo, exec_lo, s43
	s_cbranch_execz .LBB1_19
.LBB1_9:                                ; =>This Inner Loop Header: Depth=1
	v_add_nc_u64_e32 v[66:67], s[28:29], v[52:53]
	v_add_nc_u64_e32 v[64:65], s[30:31], v[52:53]
	;; [unrolled: 1-line block ×4, first 2 shown]
	s_and_not1_b32 vcc_lo, exec_lo, s42
	s_clause 0x1
	global_load_b128 v[10:13], v[66:67], off offset:16
	global_load_b128 v[14:17], v[66:67], off
	s_clause 0x1
	global_load_b128 v[2:5], v[64:65], off offset:16
	global_load_b128 v[6:9], v[64:65], off
	;; [unrolled: 3-line block ×4, first 2 shown]
	s_cbranch_vccnz .LBB1_11
; %bb.10:                               ;   in Loop: Header=BB1_9 Depth=1
	global_load_b32 v1, v53, s[12:13]
	s_wait_loadcnt 0x0
	v_cvt_f64_f32_e32 v[22:23], v1
	s_delay_alu instid0(VALU_DEP_1) | instskip(NEXT) | instid1(VALU_DEP_1)
	v_div_scale_f64 v[24:25], null, v[22:23], v[22:23], v[6:7]
	v_rcp_f64_e32 v[30:31], v[24:25]
	v_nop
	s_delay_alu instid0(TRANS32_DEP_1) | instskip(NEXT) | instid1(VALU_DEP_1)
	v_fma_f64 v[36:37], -v[24:25], v[30:31], 1.0
	v_fmac_f64_e32 v[30:31], v[30:31], v[36:37]
	s_delay_alu instid0(VALU_DEP_1) | instskip(NEXT) | instid1(VALU_DEP_1)
	v_fma_f64 v[36:37], -v[24:25], v[30:31], 1.0
	v_fmac_f64_e32 v[30:31], v[30:31], v[36:37]
	v_div_scale_f64 v[36:37], vcc_lo, v[6:7], v[22:23], v[6:7]
	s_delay_alu instid0(VALU_DEP_1) | instskip(NEXT) | instid1(VALU_DEP_1)
	v_mul_f64_e32 v[42:43], v[36:37], v[30:31]
	v_fma_f64 v[24:25], -v[24:25], v[42:43], v[36:37]
	s_delay_alu instid0(VALU_DEP_1) | instskip(NEXT) | instid1(VALU_DEP_1)
	v_div_fmas_f64 v[24:25], v[24:25], v[30:31], v[42:43]
	v_div_fixup_f64 v[6:7], v[24:25], v[22:23], v[6:7]
.LBB1_11:                               ;   in Loop: Header=BB1_9 Depth=1
	s_and_not1_b32 vcc_lo, exec_lo, s42
	s_cbranch_vccnz .LBB1_13
; %bb.12:                               ;   in Loop: Header=BB1_9 Depth=1
	global_load_b32 v1, v53, s[12:13]
	s_wait_loadcnt 0x0
	v_cvt_f64_f32_e32 v[22:23], v1
	s_delay_alu instid0(VALU_DEP_1) | instskip(NEXT) | instid1(VALU_DEP_1)
	v_div_scale_f64 v[24:25], null, v[22:23], v[22:23], v[8:9]
	v_rcp_f64_e32 v[30:31], v[24:25]
	v_nop
	s_delay_alu instid0(TRANS32_DEP_1) | instskip(NEXT) | instid1(VALU_DEP_1)
	v_fma_f64 v[36:37], -v[24:25], v[30:31], 1.0
	v_fmac_f64_e32 v[30:31], v[30:31], v[36:37]
	s_delay_alu instid0(VALU_DEP_1) | instskip(NEXT) | instid1(VALU_DEP_1)
	v_fma_f64 v[36:37], -v[24:25], v[30:31], 1.0
	v_fmac_f64_e32 v[30:31], v[30:31], v[36:37]
	v_div_scale_f64 v[36:37], vcc_lo, v[8:9], v[22:23], v[8:9]
	s_delay_alu instid0(VALU_DEP_1) | instskip(NEXT) | instid1(VALU_DEP_1)
	v_mul_f64_e32 v[42:43], v[36:37], v[30:31]
	v_fma_f64 v[24:25], -v[24:25], v[42:43], v[36:37]
	s_delay_alu instid0(VALU_DEP_1) | instskip(NEXT) | instid1(VALU_DEP_1)
	v_div_fmas_f64 v[24:25], v[24:25], v[30:31], v[42:43]
	v_div_fixup_f64 v[8:9], v[24:25], v[22:23], v[8:9]
.LBB1_13:                               ;   in Loop: Header=BB1_9 Depth=1
	s_and_not1_b32 vcc_lo, exec_lo, s42
	;; [unrolled: 24-line block ×3, first 2 shown]
	s_cbranch_vccnz .LBB1_17
; %bb.16:                               ;   in Loop: Header=BB1_9 Depth=1
	global_load_b32 v1, v53, s[12:13]
	s_wait_loadcnt 0x0
	v_cvt_f64_f32_e32 v[22:23], v1
	s_delay_alu instid0(VALU_DEP_1) | instskip(NEXT) | instid1(VALU_DEP_1)
	v_div_scale_f64 v[24:25], null, v[22:23], v[22:23], v[4:5]
	v_rcp_f64_e32 v[30:31], v[24:25]
	v_nop
	s_delay_alu instid0(TRANS32_DEP_1) | instskip(NEXT) | instid1(VALU_DEP_1)
	v_fma_f64 v[36:37], -v[24:25], v[30:31], 1.0
	v_fmac_f64_e32 v[30:31], v[30:31], v[36:37]
	s_delay_alu instid0(VALU_DEP_1) | instskip(NEXT) | instid1(VALU_DEP_1)
	v_fma_f64 v[36:37], -v[24:25], v[30:31], 1.0
	v_fmac_f64_e32 v[30:31], v[30:31], v[36:37]
	v_div_scale_f64 v[36:37], vcc_lo, v[4:5], v[22:23], v[4:5]
	s_delay_alu instid0(VALU_DEP_1) | instskip(NEXT) | instid1(VALU_DEP_1)
	v_mul_f64_e32 v[42:43], v[36:37], v[30:31]
	v_fma_f64 v[24:25], -v[24:25], v[42:43], v[36:37]
	s_delay_alu instid0(VALU_DEP_1) | instskip(NEXT) | instid1(VALU_DEP_1)
	v_div_fmas_f64 v[24:25], v[24:25], v[30:31], v[42:43]
	v_div_fixup_f64 v[4:5], v[24:25], v[22:23], v[4:5]
.LBB1_17:                               ;   in Loop: Header=BB1_9 Depth=1
	s_wait_loadcnt 0x5
	s_delay_alu instid0(VALU_DEP_1) | instskip(SKIP_1) | instid1(VALU_DEP_2)
	v_xor_b32_e32 v1, 0x80000000, v3
	s_wait_loadcnt 0x4
	v_dual_mov_b32 v24, v2 :: v_dual_mov_b32 v70, v8
	s_delay_alu instid0(VALU_DEP_2) | instskip(NEXT) | instid1(VALU_DEP_1)
	v_cndmask_b32_e64 v25, v3, v1, s2
	v_mul_f64_e32 v[22:23], v[24:25], v[24:25]
	s_delay_alu instid0(VALU_DEP_1) | instskip(SKIP_1) | instid1(VALU_DEP_1)
	v_fma_f64 v[22:23], -s[10:11], v[22:23], v[22:23]
	s_wait_loadcnt 0x1
	v_fmac_f64_e32 v[22:23], s[10:11], v[32:33]
	s_delay_alu instid0(VALU_DEP_1) | instskip(SKIP_1) | instid1(VALU_DEP_1)
	v_cmp_gt_f64_e32 vcc_lo, 0x10000000, v[22:23]
	v_cndmask_b32_e64 v1, 0, 0x100, vcc_lo
	v_ldexp_f64 v[30:31], v[22:23], v1
	v_xor_b32_e32 v1, 0x80000000, v9
	s_delay_alu instid0(VALU_DEP_1) | instskip(SKIP_1) | instid1(VALU_DEP_4)
	v_cndmask_b32_e64 v71, v9, v1, s2
	v_cndmask_b32_e64 v1, 0, 0xffffff80, vcc_lo
	v_rsq_f64_e32 v[32:33], v[30:31]
	v_cmp_class_f64_e64 vcc_lo, v[30:31], 0x260
	s_delay_alu instid0(TRANS32_DEP_1) | instskip(SKIP_1) | instid1(VALU_DEP_1)
	v_mul_f64_e32 v[36:37], v[30:31], v[32:33]
	v_mul_f64_e32 v[32:33], 0.5, v[32:33]
	v_fma_f64 v[42:43], -v[32:33], v[36:37], 0.5
	s_delay_alu instid0(VALU_DEP_1) | instskip(SKIP_1) | instid1(VALU_DEP_2)
	v_fmac_f64_e32 v[36:37], v[36:37], v[42:43]
	v_fmac_f64_e32 v[32:33], v[32:33], v[42:43]
	v_fma_f64 v[42:43], -v[36:37], v[36:37], v[30:31]
	s_delay_alu instid0(VALU_DEP_1) | instskip(NEXT) | instid1(VALU_DEP_1)
	v_fmac_f64_e32 v[36:37], v[42:43], v[32:33]
	v_fma_f64 v[42:43], -v[36:37], v[36:37], v[30:31]
	s_delay_alu instid0(VALU_DEP_1) | instskip(NEXT) | instid1(VALU_DEP_1)
	v_fmac_f64_e32 v[36:37], v[42:43], v[32:33]
	v_ldexp_f64 v[36:37], v[36:37], v1
	s_delay_alu instid0(VALU_DEP_1) | instskip(SKIP_1) | instid1(VALU_DEP_3)
	v_cndmask_b32_e32 v30, v36, v30, vcc_lo
	v_mul_f64_e32 v[68:69], v[70:71], v[70:71]
	v_cndmask_b32_e32 v31, v37, v31, vcc_lo
	s_delay_alu instid0(VALU_DEP_1) | instskip(SKIP_1) | instid1(VALU_DEP_4)
	v_div_scale_f64 v[36:37], null, v[46:47], v[46:47], v[30:31]
	v_div_scale_f64 v[78:79], vcc_lo, v[30:31], v[46:47], v[30:31]
	v_fma_f64 v[32:33], -s[10:11], v[68:69], v[68:69]
	s_wait_loadcnt 0x0
	s_delay_alu instid0(VALU_DEP_1) | instskip(NEXT) | instid1(VALU_DEP_4)
	v_fmac_f64_e32 v[32:33], s[10:11], v[40:41]
	v_rcp_f64_e32 v[40:41], v[36:37]
	s_delay_alu instid0(VALU_DEP_1) | instskip(NEXT) | instid1(TRANS32_DEP_1)
	v_cmp_gt_f64_e64 s4, 0x10000000, v[32:33]
	v_fma_f64 v[72:73], -v[36:37], v[40:41], 1.0
	s_delay_alu instid0(VALU_DEP_2) | instskip(NEXT) | instid1(VALU_DEP_1)
	v_cndmask_b32_e64 v1, 0, 0x100, s4
	v_ldexp_f64 v[42:43], v[32:33], v1
	v_xor_b32_e32 v1, 0x80000000, v7
	s_delay_alu instid0(VALU_DEP_4) | instskip(NEXT) | instid1(VALU_DEP_3)
	v_fmac_f64_e32 v[40:41], v[40:41], v[72:73]
	v_rsq_f64_e32 v[68:69], v[42:43]
	s_delay_alu instid0(VALU_DEP_1) | instskip(NEXT) | instid1(VALU_DEP_1)
	v_fma_f64 v[76:77], -v[36:37], v[40:41], 1.0
	v_fmac_f64_e32 v[40:41], v[40:41], v[76:77]
	s_delay_alu instid0(TRANS32_DEP_1) | instskip(SKIP_1) | instid1(VALU_DEP_3)
	v_mul_f64_e32 v[74:75], v[42:43], v[68:69]
	v_mul_f64_e32 v[68:69], 0.5, v[68:69]
	v_mul_f64_e32 v[76:77], v[78:79], v[40:41]
	s_delay_alu instid0(VALU_DEP_2) | instskip(NEXT) | instid1(VALU_DEP_1)
	v_fma_f64 v[72:73], -v[68:69], v[74:75], 0.5
	v_fmac_f64_e32 v[74:75], v[74:75], v[72:73]
	v_fmac_f64_e32 v[68:69], v[68:69], v[72:73]
	s_delay_alu instid0(VALU_DEP_2) | instskip(NEXT) | instid1(VALU_DEP_1)
	v_fma_f64 v[72:73], -v[74:75], v[74:75], v[42:43]
	v_fmac_f64_e32 v[74:75], v[72:73], v[68:69]
	v_fma_f64 v[72:73], -v[36:37], v[76:77], v[78:79]
	v_fma_f64 v[36:37], -s[8:9], v[24:25], v[24:25]
	s_delay_alu instid0(VALU_DEP_3) | instskip(NEXT) | instid1(VALU_DEP_3)
	v_fma_f64 v[24:25], -v[74:75], v[74:75], v[42:43]
	v_div_fmas_f64 v[72:73], v[72:73], v[40:41], v[76:77]
	v_dual_mov_b32 v40, v6 :: v_dual_cndmask_b32 v41, v7, v1, s2
	s_delay_alu instid0(VALU_DEP_4) | instskip(SKIP_2) | instid1(VALU_DEP_4)
	v_fmac_f64_e32 v[36:37], s[8:9], v[18:19]
	v_cndmask_b32_e64 v1, 0, 0xffffff80, s4
	v_cmp_class_f64_e64 vcc_lo, v[42:43], 0x260
	v_mul_f64_e32 v[76:77], v[40:41], v[40:41]
	v_fmac_f64_e32 v[74:75], v[24:25], v[68:69]
	v_div_fixup_f64 v[24:25], v[72:73], v[46:47], v[30:31]
	v_mul_f64_e32 v[18:19], v[54:55], v[36:37]
	s_delay_alu instid0(VALU_DEP_4) | instskip(NEXT) | instid1(VALU_DEP_4)
	v_fma_f64 v[30:31], -s[10:11], v[76:77], v[76:77]
	v_ldexp_f64 v[72:73], v[74:75], v1
	s_delay_alu instid0(VALU_DEP_4) | instskip(NEXT) | instid1(VALU_DEP_3)
	v_add_f64_e32 v[68:69], s[18:19], v[24:25]
	v_fmac_f64_e32 v[30:31], s[10:11], v[38:39]
	s_delay_alu instid0(VALU_DEP_3) | instskip(NEXT) | instid1(VALU_DEP_3)
	v_dual_cndmask_b32 v25, v73, v43 :: v_dual_cndmask_b32 v24, v72, v42
	v_div_scale_f64 v[38:39], null, v[68:69], v[68:69], v[18:19]
	v_div_scale_f64 v[88:89], vcc_lo, v[18:19], v[68:69], v[18:19]
	s_delay_alu instid0(VALU_DEP_3) | instskip(SKIP_1) | instid1(VALU_DEP_4)
	v_div_scale_f64 v[42:43], null, v[46:47], v[46:47], v[24:25]
	v_cmp_gt_f64_e64 s4, 0x10000000, v[30:31]
	v_rcp_f64_e32 v[74:75], v[38:39]
	s_delay_alu instid0(VALU_DEP_2) | instskip(NEXT) | instid1(VALU_DEP_1)
	v_rcp_f64_e32 v[76:77], v[42:43]
	v_cndmask_b32_e64 v1, 0, 0x100, s4
	s_delay_alu instid0(VALU_DEP_1) | instskip(SKIP_1) | instid1(TRANS32_DEP_2)
	v_ldexp_f64 v[72:73], v[30:31], v1
	v_xor_b32_e32 v1, 0x80000000, v5
	v_fma_f64 v[80:81], -v[38:39], v[74:75], 1.0
	s_delay_alu instid0(TRANS32_DEP_1) | instskip(NEXT) | instid1(VALU_DEP_4)
	v_fma_f64 v[82:83], -v[42:43], v[76:77], 1.0
	v_rsq_f64_e32 v[78:79], v[72:73]
	s_delay_alu instid0(VALU_DEP_2) | instskip(NEXT) | instid1(VALU_DEP_2)
	v_fmac_f64_e32 v[74:75], v[74:75], v[80:81]
	v_fmac_f64_e32 v[76:77], v[76:77], v[82:83]
	s_delay_alu instid0(TRANS32_DEP_1) | instskip(SKIP_4) | instid1(VALU_DEP_4)
	v_mul_f64_e32 v[84:85], v[72:73], v[78:79]
	v_mul_f64_e32 v[78:79], 0.5, v[78:79]
	v_fma_f64 v[40:41], -s[8:9], v[40:41], v[40:41]
	v_fma_f64 v[82:83], -v[38:39], v[74:75], 1.0
	v_fma_f64 v[86:87], -v[42:43], v[76:77], 1.0
	;; [unrolled: 1-line block ×3, first 2 shown]
	s_delay_alu instid0(VALU_DEP_4) | instskip(NEXT) | instid1(VALU_DEP_4)
	v_fmac_f64_e32 v[40:41], s[8:9], v[26:27]
	v_fmac_f64_e32 v[74:75], v[74:75], v[82:83]
	v_div_scale_f64 v[82:83], s5, v[24:25], v[46:47], v[24:25]
	v_fmac_f64_e32 v[76:77], v[76:77], v[86:87]
	v_fmac_f64_e32 v[84:85], v[84:85], v[80:81]
	;; [unrolled: 1-line block ×3, first 2 shown]
	v_mul_f64_e32 v[86:87], v[88:89], v[74:75]
	s_delay_alu instid0(VALU_DEP_4) | instskip(NEXT) | instid1(VALU_DEP_4)
	v_mul_f64_e32 v[90:91], v[82:83], v[76:77]
	v_fma_f64 v[80:81], -v[84:85], v[84:85], v[72:73]
	s_delay_alu instid0(VALU_DEP_3) | instskip(NEXT) | instid1(VALU_DEP_2)
	v_fma_f64 v[38:39], -v[38:39], v[86:87], v[88:89]
	v_fmac_f64_e32 v[84:85], v[80:81], v[78:79]
	s_delay_alu instid0(VALU_DEP_4) | instskip(SKIP_1) | instid1(VALU_DEP_4)
	v_fma_f64 v[80:81], -v[42:43], v[90:91], v[82:83]
	v_fma_f64 v[42:43], -s[8:9], v[70:71], v[70:71]
	v_div_fmas_f64 v[70:71], v[38:39], v[74:75], v[86:87]
	v_dual_mov_b32 v74, v4 :: v_dual_cndmask_b32 v75, v5, v1, s2
	s_mov_b32 vcc_lo, s5
	v_cndmask_b32_e64 v1, 0, 0xffffff80, s4
	v_fma_f64 v[82:83], -v[84:85], v[84:85], v[72:73]
	v_div_fmas_f64 v[38:39], v[80:81], v[76:77], v[90:91]
	v_mul_f64_e32 v[76:77], v[74:75], v[74:75]
	v_fmac_f64_e32 v[42:43], s[8:9], v[28:29]
	v_cmp_class_f64_e64 vcc_lo, v[72:73], 0x260
	v_div_fixup_f64 v[18:19], v[70:71], v[68:69], v[18:19]
	v_fmac_f64_e32 v[84:85], v[82:83], v[78:79]
	v_div_fixup_f64 v[28:29], v[38:39], v[46:47], v[24:25]
	v_fma_f64 v[24:25], -s[10:11], v[76:77], v[76:77]
	v_mul_f64_e32 v[76:77], v[54:55], v[42:43]
	s_delay_alu instid0(VALU_DEP_4) | instskip(NEXT) | instid1(VALU_DEP_4)
	v_ldexp_f64 v[38:39], v[84:85], v1
	v_add_f64_e32 v[28:29], s[18:19], v[28:29]
	s_delay_alu instid0(VALU_DEP_4) | instskip(NEXT) | instid1(VALU_DEP_3)
	v_fmac_f64_e32 v[24:25], s[10:11], v[34:35]
	v_dual_cndmask_b32 v35, v39, v73 :: v_dual_cndmask_b32 v34, v38, v72
	s_delay_alu instid0(VALU_DEP_2) | instskip(NEXT) | instid1(VALU_DEP_4)
	v_cmp_gt_f64_e64 s4, 0x10000000, v[24:25]
	v_div_scale_f64 v[38:39], null, v[28:29], v[28:29], v[76:77]
	v_div_scale_f64 v[94:95], vcc_lo, v[76:77], v[28:29], v[76:77]
	s_delay_alu instid0(VALU_DEP_4) | instskip(NEXT) | instid1(VALU_DEP_4)
	v_div_scale_f64 v[72:73], null, v[46:47], v[46:47], v[34:35]
	v_cndmask_b32_e64 v1, 0, 0x100, s4
	s_delay_alu instid0(VALU_DEP_4) | instskip(NEXT) | instid1(VALU_DEP_1)
	v_rcp_f64_e32 v[80:81], v[38:39]
	v_ldexp_f64 v[78:79], v[24:25], v1
	s_delay_alu instid0(VALU_DEP_3) | instskip(SKIP_1) | instid1(VALU_DEP_2)
	v_rcp_f64_e32 v[82:83], v[72:73]
	v_cndmask_b32_e64 v1, 0, 0xffffff80, s4
	v_rsq_f64_e32 v[84:85], v[78:79]
	s_delay_alu instid0(TRANS32_DEP_3) | instskip(NEXT) | instid1(TRANS32_DEP_2)
	v_fma_f64 v[86:87], -v[38:39], v[80:81], 1.0
	v_fma_f64 v[88:89], -v[72:73], v[82:83], 1.0
	s_delay_alu instid0(VALU_DEP_2) | instskip(NEXT) | instid1(TRANS32_DEP_1)
	v_fmac_f64_e32 v[80:81], v[80:81], v[86:87]
	v_mul_f64_e32 v[90:91], v[78:79], v[84:85]
	v_mul_f64_e32 v[84:85], 0.5, v[84:85]
	s_delay_alu instid0(VALU_DEP_4) | instskip(NEXT) | instid1(VALU_DEP_4)
	v_fmac_f64_e32 v[82:83], v[82:83], v[88:89]
	v_fma_f64 v[88:89], -v[38:39], v[80:81], 1.0
	s_delay_alu instid0(VALU_DEP_3) | instskip(NEXT) | instid1(VALU_DEP_3)
	v_fma_f64 v[86:87], -v[84:85], v[90:91], 0.5
	v_fma_f64 v[92:93], -v[72:73], v[82:83], 1.0
	s_delay_alu instid0(VALU_DEP_3) | instskip(SKIP_1) | instid1(VALU_DEP_4)
	v_fmac_f64_e32 v[80:81], v[80:81], v[88:89]
	v_div_scale_f64 v[88:89], s5, v[34:35], v[46:47], v[34:35]
	v_fmac_f64_e32 v[90:91], v[90:91], v[86:87]
	s_delay_alu instid0(VALU_DEP_4) | instskip(SKIP_2) | instid1(VALU_DEP_4)
	v_fmac_f64_e32 v[82:83], v[82:83], v[92:93]
	v_fmac_f64_e32 v[84:85], v[84:85], v[86:87]
	v_mul_f64_e32 v[92:93], v[94:95], v[80:81]
	v_fma_f64 v[86:87], -v[90:91], v[90:91], v[78:79]
	s_delay_alu instid0(VALU_DEP_4) | instskip(NEXT) | instid1(VALU_DEP_3)
	v_mul_f64_e32 v[96:97], v[88:89], v[82:83]
	v_fma_f64 v[38:39], -v[38:39], v[92:93], v[94:95]
	s_delay_alu instid0(VALU_DEP_3) | instskip(NEXT) | instid1(VALU_DEP_3)
	v_fmac_f64_e32 v[90:91], v[86:87], v[84:85]
	v_fma_f64 v[72:73], -v[72:73], v[96:97], v[88:89]
	s_delay_alu instid0(VALU_DEP_3) | instskip(SKIP_1) | instid1(VALU_DEP_3)
	v_div_fmas_f64 v[80:81], v[38:39], v[80:81], v[92:93]
	s_mov_b32 vcc_lo, s5
	v_fma_f64 v[86:87], -v[90:91], v[90:91], v[78:79]
	s_delay_alu instid0(VALU_DEP_3)
	v_div_fmas_f64 v[38:39], v[72:73], v[82:83], v[96:97]
	v_cmp_class_f64_e64 vcc_lo, v[78:79], 0x260
	v_mul_f64_e32 v[72:73], v[54:55], v[40:41]
	v_div_fixup_f64 v[28:29], v[80:81], v[28:29], v[76:77]
	v_fmac_f64_e32 v[90:91], v[86:87], v[84:85]
	v_div_fixup_f64 v[26:27], v[38:39], v[46:47], v[34:35]
	s_delay_alu instid0(VALU_DEP_2) | instskip(NEXT) | instid1(VALU_DEP_2)
	v_ldexp_f64 v[34:35], v[90:91], v1
	v_add_f64_e32 v[26:27], s[18:19], v[26:27]
	s_delay_alu instid0(VALU_DEP_2) | instskip(NEXT) | instid1(VALU_DEP_2)
	v_dual_cndmask_b32 v35, v35, v79 :: v_dual_cndmask_b32 v34, v34, v78
	v_div_scale_f64 v[38:39], null, v[26:27], v[26:27], v[72:73]
	v_div_scale_f64 v[90:91], vcc_lo, v[72:73], v[26:27], v[72:73]
	s_delay_alu instid0(VALU_DEP_3) | instskip(NEXT) | instid1(VALU_DEP_3)
	v_div_scale_f64 v[78:79], null, v[46:47], v[46:47], v[34:35]
	v_rcp_f64_e32 v[82:83], v[38:39]
	s_delay_alu instid0(VALU_DEP_1) | instskip(NEXT) | instid1(TRANS32_DEP_2)
	v_rcp_f64_e32 v[84:85], v[78:79]
	v_fma_f64 v[86:87], -v[38:39], v[82:83], 1.0
	s_delay_alu instid0(TRANS32_DEP_1) | instskip(NEXT) | instid1(VALU_DEP_2)
	v_fma_f64 v[88:89], -v[78:79], v[84:85], 1.0
	v_fmac_f64_e32 v[82:83], v[82:83], v[86:87]
	s_delay_alu instid0(VALU_DEP_2) | instskip(NEXT) | instid1(VALU_DEP_2)
	v_fmac_f64_e32 v[84:85], v[84:85], v[88:89]
	v_fma_f64 v[86:87], -v[38:39], v[82:83], 1.0
	s_delay_alu instid0(VALU_DEP_2) | instskip(NEXT) | instid1(VALU_DEP_2)
	v_fma_f64 v[88:89], -v[78:79], v[84:85], 1.0
	v_fmac_f64_e32 v[82:83], v[82:83], v[86:87]
	v_div_scale_f64 v[86:87], s4, v[34:35], v[46:47], v[34:35]
	s_delay_alu instid0(VALU_DEP_3) | instskip(NEXT) | instid1(VALU_DEP_3)
	v_fmac_f64_e32 v[84:85], v[84:85], v[88:89]
	v_mul_f64_e32 v[88:89], v[90:91], v[82:83]
	s_delay_alu instid0(VALU_DEP_2) | instskip(NEXT) | instid1(VALU_DEP_2)
	v_mul_f64_e32 v[92:93], v[86:87], v[84:85]
	v_fma_f64 v[90:91], -v[38:39], v[88:89], v[90:91]
	v_fma_f64 v[38:39], -s[8:9], v[74:75], v[74:75]
	s_delay_alu instid0(VALU_DEP_3) | instskip(NEXT) | instid1(VALU_DEP_3)
	v_fma_f64 v[78:79], -v[78:79], v[92:93], v[86:87]
	v_div_fmas_f64 v[74:75], v[90:91], v[82:83], v[88:89]
	s_mov_b32 vcc_lo, s4
	s_delay_alu instid0(VALU_DEP_3) | instskip(SKIP_1) | instid1(VALU_DEP_4)
	v_fmac_f64_e32 v[38:39], s[8:9], v[20:21]
	v_fma_f64 v[88:89], -v[56:57], v[12:13], v[12:13]
	v_div_fmas_f64 v[78:79], v[78:79], v[84:85], v[92:93]
	s_delay_alu instid0(VALU_DEP_4) | instskip(NEXT) | instid1(VALU_DEP_3)
	v_div_fixup_f64 v[26:27], v[74:75], v[26:27], v[72:73]
	v_cndmask_b32_e64 v13, v13, v89, s3
	s_delay_alu instid0(VALU_DEP_3) | instskip(SKIP_1) | instid1(VALU_DEP_2)
	v_div_fixup_f64 v[20:21], v[78:79], v[46:47], v[34:35]
	v_dual_mul_f64 v[34:35], v[54:55], v[38:39] :: v_dual_cndmask_b32 v12, v12, v88, s3
	v_add_f64_e32 v[20:21], s[18:19], v[20:21]
	s_delay_alu instid0(VALU_DEP_1) | instskip(NEXT) | instid1(VALU_DEP_1)
	v_div_scale_f64 v[78:79], null, v[20:21], v[20:21], v[34:35]
	v_rcp_f64_e32 v[82:83], v[78:79]
	v_nop
	s_delay_alu instid0(TRANS32_DEP_1) | instskip(NEXT) | instid1(VALU_DEP_1)
	v_fma_f64 v[84:85], -v[78:79], v[82:83], 1.0
	v_fmac_f64_e32 v[82:83], v[82:83], v[84:85]
	s_delay_alu instid0(VALU_DEP_1) | instskip(NEXT) | instid1(VALU_DEP_1)
	v_fma_f64 v[84:85], -v[78:79], v[82:83], 1.0
	v_fmac_f64_e32 v[82:83], v[82:83], v[84:85]
	v_div_scale_f64 v[84:85], vcc_lo, v[34:35], v[20:21], v[34:35]
	s_delay_alu instid0(VALU_DEP_1) | instskip(NEXT) | instid1(VALU_DEP_1)
	v_mul_f64_e32 v[86:87], v[84:85], v[82:83]
	v_fma_f64 v[78:79], -v[78:79], v[86:87], v[84:85]
	v_fma_f64 v[84:85], -v[56:57], v[16:17], v[16:17]
	s_delay_alu instid0(VALU_DEP_2) | instskip(SKIP_2) | instid1(VALU_DEP_4)
	v_div_fmas_f64 v[78:79], v[78:79], v[82:83], v[86:87]
	v_fma_f64 v[86:87], -v[56:57], v[14:15], v[14:15]
	v_fma_f64 v[82:83], -v[56:57], v[10:11], v[10:11]
	v_dual_cndmask_b32 v17, v17, v85, s3 :: v_dual_cndmask_b32 v16, v16, v84, s3
	s_and_not1_b32 vcc_lo, exec_lo, s42
	s_delay_alu instid0(VALU_DEP_1) | instskip(SKIP_3) | instid1(VALU_DEP_2)
	v_add_f64_e64 v[16:17], v[16:17], -v[28:29]
	v_div_fixup_f64 v[20:21], v[78:79], v[20:21], v[34:35]
	v_dual_cndmask_b32 v15, v15, v87, s3 :: v_dual_cndmask_b32 v14, v14, v86, s3
	v_dual_cndmask_b32 v11, v11, v83, s3 :: v_dual_cndmask_b32 v10, v10, v82, s3
	v_add_f64_e64 v[14:15], v[14:15], -v[26:27]
	s_delay_alu instid0(VALU_DEP_2)
	v_add_f64_e64 v[10:11], v[10:11], -v[18:19]
	v_add_f64_e64 v[12:13], v[12:13], -v[20:21]
	s_clause 0x1
	global_store_b128 v[66:67], v[14:17], off
	global_store_b128 v[66:67], v[10:13], off offset:16
	s_cbranch_vccnz .LBB1_8
; %bb.18:                               ;   in Loop: Header=BB1_9 Depth=1
	s_clause 0x1
	global_store_b128 v[64:65], v[6:9], off
	global_store_b128 v[64:65], v[2:5], off offset:16
	s_branch .LBB1_8
.LBB1_19:
	s_or_b32 exec_lo, exec_lo, s33
	s_mov_b32 s3, 0
.LBB1_20:
	s_delay_alu instid0(SALU_CYCLE_1)
	s_and_not1_b32 vcc_lo, exec_lo, s3
	s_cbranch_vccnz .LBB1_82
; %bb.21:
	v_cmp_lt_i64_e64 s3, s[26:27], 1
	s_and_b32 vcc_lo, exec_lo, s3
	s_cbranch_vccnz .LBB1_82
; %bb.22:
	v_div_scale_f64 v[2:3], null, v[48:49], v[48:49], v[44:45]
	v_div_scale_f64 v[8:9], vcc_lo, v[44:45], v[48:49], v[44:45]
	s_wait_xcnt 0x0
	s_load_b32 s1, s[0:1], 0xd64
	s_wait_kmcnt 0x0
	v_cmp_neq_f64_e64 s0, s[16:17], 0
	s_mov_b32 s5, 0
	v_mov_b32_e32 v1, 0
	s_mov_b32 s29, s5
	s_mov_b32 s31, s5
	s_delay_alu instid0(VALU_DEP_1) | instskip(SKIP_1) | instid1(SALU_CYCLE_1)
	v_dual_mov_b32 v19, v1 :: v_dual_lshlrev_b32 v18, 3, v0
	s_and_b32 s4, s1, 0xffff
	s_lshl_b32 s28, s4, 1
	s_cmp_lg_u64 s[12:13], 0
	s_mul_i32 s30, s4, 3
	v_add_nc_u64_e32 v[38:39], s[28:29], v[0:1]
	v_add_nc_u64_e32 v[28:29], s[30:31], v[0:1]
	v_rcp_f64_e32 v[4:5], v[2:3]
	v_nop
	s_delay_alu instid0(TRANS32_DEP_1) | instskip(NEXT) | instid1(VALU_DEP_1)
	v_fma_f64 v[6:7], -v[2:3], v[4:5], 1.0
	v_fmac_f64_e32 v[4:5], v[4:5], v[6:7]
	s_delay_alu instid0(VALU_DEP_1) | instskip(NEXT) | instid1(VALU_DEP_1)
	v_fma_f64 v[6:7], -v[2:3], v[4:5], 1.0
	v_fmac_f64_e32 v[4:5], v[4:5], v[6:7]
	s_delay_alu instid0(VALU_DEP_1) | instskip(NEXT) | instid1(VALU_DEP_1)
	v_mul_f64_e32 v[6:7], v[8:9], v[4:5]
	v_fma_f64 v[2:3], -v[2:3], v[6:7], v[8:9]
	v_mul_f64_e32 v[8:9], s[16:17], v[44:45]
	s_mov_b32 s17, s5
	v_mad_nc_u64_u32 v[26:27], s4, 24, v[18:19]
	v_add_nc_u64_e32 v[10:11], s[14:15], v[18:19]
	v_add_nc_u64_e32 v[12:13], s[20:21], v[18:19]
	;; [unrolled: 1-line block ×8, first 2 shown]
	v_div_fmas_f64 v[6:7], v[2:3], v[4:5], v[6:7]
	v_min_i64 v[2:3], 0x10000, s[26:27]
	v_min_u64 v[4:5], 0x10000, s[26:27]
	s_cselect_b32 s26, -1, 0
	s_lshl_b32 s16, s4, 4
	s_delay_alu instid0(SALU_CYCLE_1) | instskip(SKIP_2) | instid1(VALU_DEP_2)
	v_add_nc_u64_e32 v[36:37], s[16:17], v[18:19]
	v_add_nc_u64_e32 v[18:19], s[4:5], v[0:1]
	s_lshl_b32 s16, s4, 2
	v_add_nc_u64_e32 v[30:31], s[14:15], v[36:37]
	v_add_nc_u64_e32 v[32:33], s[20:21], v[36:37]
	;; [unrolled: 1-line block ×4, first 2 shown]
	v_div_fixup_f64 v[6:7], v[6:7], v[48:49], v[44:45]
	v_dual_mov_b32 v49, v1 :: v_dual_lshlrev_b32 v48, 3, v18
	s_delay_alu instid0(VALU_DEP_1)
	v_add_nc_u64_e32 v[40:41], s[14:15], v[48:49]
	v_add_nc_u64_e32 v[42:43], s[20:21], v[48:49]
	;; [unrolled: 1-line block ×4, first 2 shown]
	s_mov_b64 s[14:15], 0
	s_lshl_b32 s20, s4, 5
	s_mov_b32 s21, s5
	s_branch .LBB1_24
.LBB1_23:                               ;   in Loop: Header=BB1_24 Depth=1
	s_wait_xcnt 0x0
	s_or_b32 exec_lo, exec_lo, s1
	s_add_nc_u64 s[14:15], s[14:15], s[16:17]
	v_add_nc_u64_e32 v[10:11], s[20:21], v[10:11]
	v_cmp_ge_i64_e32 vcc_lo, s[14:15], v[2:3]
	v_add_nc_u64_e32 v[12:13], s[20:21], v[12:13]
	v_add_nc_u64_e32 v[14:15], s[20:21], v[14:15]
	;; [unrolled: 1-line block ×15, first 2 shown]
	s_cbranch_vccnz .LBB1_82
.LBB1_24:                               ; =>This Inner Loop Header: Depth=1
	v_add_nc_u64_e32 v[52:53], s[14:15], v[0:1]
	v_mov_b64_e32 v[80:81], 0
	v_mov_b64_e32 v[50:51], 0
	v_mov_b64_e32 v[74:75], 0
	s_delay_alu instid0(VALU_DEP_4)
	v_cmp_lt_u64_e64 s1, v[52:53], v[4:5]
	s_and_saveexec_b32 s3, s1
	s_cbranch_execz .LBB1_26
; %bb.25:                               ;   in Loop: Header=BB1_24 Depth=1
	v_add_nc_u64_e32 v[52:53], s[6:7], v[10:11]
	v_add_nc_u64_e32 v[54:55], s[6:7], v[12:13]
	global_load_b64 v[74:75], v[52:53], off
	global_load_b64 v[50:51], v[54:55], off
.LBB1_26:                               ;   in Loop: Header=BB1_24 Depth=1
	s_wait_xcnt 0x0
	s_or_b32 exec_lo, exec_lo, s3
	v_mov_b64_e32 v[84:85], 0
	s_and_saveexec_b32 s3, s1
	s_cbranch_execz .LBB1_28
; %bb.27:                               ;   in Loop: Header=BB1_24 Depth=1
	v_add_nc_u64_e32 v[52:53], s[6:7], v[14:15]
	v_add_nc_u64_e32 v[54:55], s[6:7], v[16:17]
	global_load_b64 v[84:85], v[52:53], off
	global_load_b64 v[80:81], v[54:55], off
.LBB1_28:                               ;   in Loop: Header=BB1_24 Depth=1
	s_wait_xcnt 0x0
	s_or_b32 exec_lo, exec_lo, s3
	v_add_nc_u64_e32 v[54:55], s[14:15], v[18:19]
	v_mov_b64_e32 v[78:79], 0
	v_mov_b64_e32 v[52:53], 0
	v_mov_b64_e32 v[66:67], 0
	s_delay_alu instid0(VALU_DEP_4)
	v_cmp_lt_u64_e64 s3, v[54:55], v[4:5]
	s_and_saveexec_b32 s4, s3
	s_cbranch_execz .LBB1_30
; %bb.29:                               ;   in Loop: Header=BB1_24 Depth=1
	v_add_nc_u64_e32 v[54:55], s[6:7], v[40:41]
	v_add_nc_u64_e32 v[56:57], s[6:7], v[42:43]
	global_load_b64 v[66:67], v[54:55], off
	global_load_b64 v[52:53], v[56:57], off
.LBB1_30:                               ;   in Loop: Header=BB1_24 Depth=1
	s_wait_xcnt 0x0
	s_or_b32 exec_lo, exec_lo, s4
	v_mov_b64_e32 v[82:83], 0
	s_and_saveexec_b32 s4, s3
	s_cbranch_execz .LBB1_32
; %bb.31:                               ;   in Loop: Header=BB1_24 Depth=1
	v_add_nc_u64_e32 v[54:55], s[6:7], v[44:45]
	v_add_nc_u64_e32 v[56:57], s[6:7], v[48:49]
	global_load_b64 v[82:83], v[54:55], off
	global_load_b64 v[78:79], v[56:57], off
.LBB1_32:                               ;   in Loop: Header=BB1_24 Depth=1
	s_wait_xcnt 0x0
	s_or_b32 exec_lo, exec_lo, s4
	v_add_nc_u64_e32 v[56:57], s[14:15], v[38:39]
	v_mov_b64_e32 v[72:73], 0
	v_mov_b64_e32 v[54:55], 0
	v_mov_b64_e32 v[60:61], 0
	s_delay_alu instid0(VALU_DEP_4)
	v_cmp_lt_u64_e64 s4, v[56:57], v[4:5]
	s_and_saveexec_b32 s5, s4
	s_cbranch_execz .LBB1_34
; %bb.33:                               ;   in Loop: Header=BB1_24 Depth=1
	v_add_nc_u64_e32 v[56:57], s[6:7], v[30:31]
	v_add_nc_u64_e32 v[58:59], s[6:7], v[32:33]
	global_load_b64 v[60:61], v[56:57], off
	global_load_b64 v[54:55], v[58:59], off
.LBB1_34:                               ;   in Loop: Header=BB1_24 Depth=1
	s_wait_xcnt 0x0
	s_or_b32 exec_lo, exec_lo, s5
	v_mov_b64_e32 v[76:77], 0
	s_and_saveexec_b32 s5, s4
	s_cbranch_execz .LBB1_36
; %bb.35:                               ;   in Loop: Header=BB1_24 Depth=1
	v_add_nc_u64_e32 v[56:57], s[6:7], v[34:35]
	v_add_nc_u64_e32 v[58:59], s[6:7], v[36:37]
	global_load_b64 v[76:77], v[56:57], off
	global_load_b64 v[72:73], v[58:59], off
.LBB1_36:                               ;   in Loop: Header=BB1_24 Depth=1
	s_wait_xcnt 0x0
	s_or_b32 exec_lo, exec_lo, s5
	v_add_nc_u64_e32 v[58:59], s[14:15], v[28:29]
	v_mov_b64_e32 v[64:65], 0
	v_mov_b64_e32 v[56:57], 0
	s_delay_alu instid0(VALU_DEP_3)
	v_cmp_lt_u64_e64 s5, v[58:59], v[4:5]
	v_mov_b64_e32 v[58:59], 0
	s_and_saveexec_b32 s22, s5
	s_cbranch_execnz .LBB1_69
; %bb.37:                               ;   in Loop: Header=BB1_24 Depth=1
	s_or_b32 exec_lo, exec_lo, s22
	v_mov_b64_e32 v[70:71], 0
	s_and_saveexec_b32 s22, s5
	s_cbranch_execnz .LBB1_70
.LBB1_38:                               ;   in Loop: Header=BB1_24 Depth=1
	s_or_b32 exec_lo, exec_lo, s22
	s_delay_alu instid0(SALU_CYCLE_1)
	s_and_not1_b32 vcc_lo, exec_lo, s26
	s_cbranch_vccnz .LBB1_40
.LBB1_39:                               ;   in Loop: Header=BB1_24 Depth=1
	global_load_b32 v62, v1, s[12:13]
	s_wait_loadcnt 0x0
	v_cvt_f64_f32_e32 v[62:63], v62
	s_delay_alu instid0(VALU_DEP_1) | instskip(NEXT) | instid1(VALU_DEP_1)
	v_div_scale_f64 v[68:69], null, v[62:63], v[62:63], v[50:51]
	v_rcp_f64_e32 v[86:87], v[68:69]
	v_nop
	s_delay_alu instid0(TRANS32_DEP_1) | instskip(NEXT) | instid1(VALU_DEP_1)
	v_fma_f64 v[88:89], -v[68:69], v[86:87], 1.0
	v_fmac_f64_e32 v[86:87], v[86:87], v[88:89]
	s_delay_alu instid0(VALU_DEP_1) | instskip(NEXT) | instid1(VALU_DEP_1)
	v_fma_f64 v[88:89], -v[68:69], v[86:87], 1.0
	v_fmac_f64_e32 v[86:87], v[86:87], v[88:89]
	v_div_scale_f64 v[88:89], vcc_lo, v[50:51], v[62:63], v[50:51]
	s_delay_alu instid0(VALU_DEP_1) | instskip(NEXT) | instid1(VALU_DEP_1)
	v_mul_f64_e32 v[90:91], v[88:89], v[86:87]
	v_fma_f64 v[68:69], -v[68:69], v[90:91], v[88:89]
	s_delay_alu instid0(VALU_DEP_1) | instskip(NEXT) | instid1(VALU_DEP_1)
	v_div_fmas_f64 v[68:69], v[68:69], v[86:87], v[90:91]
	v_div_fixup_f64 v[50:51], v[68:69], v[62:63], v[50:51]
.LBB1_40:                               ;   in Loop: Header=BB1_24 Depth=1
	s_and_not1_b32 vcc_lo, exec_lo, s26
	s_cbranch_vccnz .LBB1_42
; %bb.41:                               ;   in Loop: Header=BB1_24 Depth=1
	global_load_b32 v62, v1, s[12:13]
	s_wait_loadcnt 0x0
	v_cvt_f64_f32_e32 v[62:63], v62
	s_delay_alu instid0(VALU_DEP_1) | instskip(NEXT) | instid1(VALU_DEP_1)
	v_div_scale_f64 v[68:69], null, v[62:63], v[62:63], v[52:53]
	v_rcp_f64_e32 v[86:87], v[68:69]
	v_nop
	s_delay_alu instid0(TRANS32_DEP_1) | instskip(NEXT) | instid1(VALU_DEP_1)
	v_fma_f64 v[88:89], -v[68:69], v[86:87], 1.0
	v_fmac_f64_e32 v[86:87], v[86:87], v[88:89]
	s_delay_alu instid0(VALU_DEP_1) | instskip(NEXT) | instid1(VALU_DEP_1)
	v_fma_f64 v[88:89], -v[68:69], v[86:87], 1.0
	v_fmac_f64_e32 v[86:87], v[86:87], v[88:89]
	v_div_scale_f64 v[88:89], vcc_lo, v[52:53], v[62:63], v[52:53]
	s_delay_alu instid0(VALU_DEP_1) | instskip(NEXT) | instid1(VALU_DEP_1)
	v_mul_f64_e32 v[90:91], v[88:89], v[86:87]
	v_fma_f64 v[68:69], -v[68:69], v[90:91], v[88:89]
	s_delay_alu instid0(VALU_DEP_1) | instskip(NEXT) | instid1(VALU_DEP_1)
	v_div_fmas_f64 v[68:69], v[68:69], v[86:87], v[90:91]
	v_div_fixup_f64 v[52:53], v[68:69], v[62:63], v[52:53]
.LBB1_42:                               ;   in Loop: Header=BB1_24 Depth=1
	s_and_not1_b32 vcc_lo, exec_lo, s26
	s_cbranch_vccnz .LBB1_44
; %bb.43:                               ;   in Loop: Header=BB1_24 Depth=1
	global_load_b32 v62, v1, s[12:13]
	s_wait_loadcnt 0x0
	v_cvt_f64_f32_e32 v[62:63], v62
	s_delay_alu instid0(VALU_DEP_1) | instskip(NEXT) | instid1(VALU_DEP_1)
	v_div_scale_f64 v[68:69], null, v[62:63], v[62:63], v[54:55]
	v_rcp_f64_e32 v[86:87], v[68:69]
	v_nop
	s_delay_alu instid0(TRANS32_DEP_1) | instskip(NEXT) | instid1(VALU_DEP_1)
	v_fma_f64 v[88:89], -v[68:69], v[86:87], 1.0
	v_fmac_f64_e32 v[86:87], v[86:87], v[88:89]
	s_delay_alu instid0(VALU_DEP_1) | instskip(NEXT) | instid1(VALU_DEP_1)
	v_fma_f64 v[88:89], -v[68:69], v[86:87], 1.0
	v_fmac_f64_e32 v[86:87], v[86:87], v[88:89]
	v_div_scale_f64 v[88:89], vcc_lo, v[54:55], v[62:63], v[54:55]
	s_delay_alu instid0(VALU_DEP_1) | instskip(NEXT) | instid1(VALU_DEP_1)
	v_mul_f64_e32 v[90:91], v[88:89], v[86:87]
	v_fma_f64 v[68:69], -v[68:69], v[90:91], v[88:89]
	s_delay_alu instid0(VALU_DEP_1) | instskip(NEXT) | instid1(VALU_DEP_1)
	v_div_fmas_f64 v[68:69], v[68:69], v[86:87], v[90:91]
	v_div_fixup_f64 v[54:55], v[68:69], v[62:63], v[54:55]
.LBB1_44:                               ;   in Loop: Header=BB1_24 Depth=1
	s_and_not1_b32 vcc_lo, exec_lo, s26
	s_cbranch_vccnz .LBB1_46
; %bb.45:                               ;   in Loop: Header=BB1_24 Depth=1
	global_load_b32 v62, v1, s[12:13]
	s_wait_loadcnt 0x0
	v_cvt_f64_f32_e32 v[62:63], v62
	s_delay_alu instid0(VALU_DEP_1) | instskip(NEXT) | instid1(VALU_DEP_1)
	v_div_scale_f64 v[68:69], null, v[62:63], v[62:63], v[56:57]
	v_rcp_f64_e32 v[86:87], v[68:69]
	v_nop
	s_delay_alu instid0(TRANS32_DEP_1) | instskip(NEXT) | instid1(VALU_DEP_1)
	v_fma_f64 v[88:89], -v[68:69], v[86:87], 1.0
	v_fmac_f64_e32 v[86:87], v[86:87], v[88:89]
	s_delay_alu instid0(VALU_DEP_1) | instskip(NEXT) | instid1(VALU_DEP_1)
	v_fma_f64 v[88:89], -v[68:69], v[86:87], 1.0
	v_fmac_f64_e32 v[86:87], v[86:87], v[88:89]
	v_div_scale_f64 v[88:89], vcc_lo, v[56:57], v[62:63], v[56:57]
	s_delay_alu instid0(VALU_DEP_1) | instskip(NEXT) | instid1(VALU_DEP_1)
	v_mul_f64_e32 v[90:91], v[88:89], v[86:87]
	v_fma_f64 v[68:69], -v[68:69], v[90:91], v[88:89]
	s_delay_alu instid0(VALU_DEP_1) | instskip(NEXT) | instid1(VALU_DEP_1)
	v_div_fmas_f64 v[68:69], v[68:69], v[86:87], v[90:91]
	v_div_fixup_f64 v[56:57], v[68:69], v[62:63], v[56:57]
.LBB1_46:                               ;   in Loop: Header=BB1_24 Depth=1
	s_wait_loadcnt 0x0
	s_delay_alu instid0(VALU_DEP_1) | instskip(NEXT) | instid1(VALU_DEP_1)
	v_xor_b32_e32 v62, 0x80000000, v51
	v_dual_cndmask_b32 v63, v51, v62, s2 :: v_dual_mov_b32 v62, v50
	s_delay_alu instid0(VALU_DEP_1) | instskip(SKIP_1) | instid1(VALU_DEP_2)
	v_mul_f64_e32 v[86:87], v[62:63], v[62:63]
	v_fma_f64 v[68:69], -s[8:9], v[62:63], v[62:63]
	v_fma_f64 v[62:63], -s[10:11], v[86:87], v[86:87]
	s_delay_alu instid0(VALU_DEP_2) | instskip(NEXT) | instid1(VALU_DEP_2)
	v_fmac_f64_e32 v[68:69], s[8:9], v[84:85]
	v_fmac_f64_e32 v[62:63], s[10:11], v[80:81]
	s_wait_xcnt 0x0
	s_and_saveexec_b32 s22, s1
	s_cbranch_execz .LBB1_48
; %bb.47:                               ;   in Loop: Header=BB1_24 Depth=1
	s_delay_alu instid0(VALU_DEP_1) | instskip(SKIP_1) | instid1(VALU_DEP_1)
	v_cmp_gt_f64_e32 vcc_lo, 0x10000000, v[62:63]
	v_cndmask_b32_e64 v80, 0, 0x100, vcc_lo
	v_ldexp_f64 v[80:81], v[62:63], v80
	s_delay_alu instid0(VALU_DEP_1) | instskip(SKIP_1) | instid1(TRANS32_DEP_1)
	v_rsq_f64_e32 v[84:85], v[80:81]
	v_nop
	v_mul_f64_e32 v[86:87], v[80:81], v[84:85]
	v_mul_f64_e32 v[84:85], 0.5, v[84:85]
	s_delay_alu instid0(VALU_DEP_1) | instskip(NEXT) | instid1(VALU_DEP_1)
	v_fma_f64 v[88:89], -v[84:85], v[86:87], 0.5
	v_fmac_f64_e32 v[86:87], v[86:87], v[88:89]
	v_fmac_f64_e32 v[84:85], v[84:85], v[88:89]
	s_delay_alu instid0(VALU_DEP_2) | instskip(NEXT) | instid1(VALU_DEP_1)
	v_fma_f64 v[88:89], -v[86:87], v[86:87], v[80:81]
	v_fmac_f64_e32 v[86:87], v[88:89], v[84:85]
	s_delay_alu instid0(VALU_DEP_1) | instskip(NEXT) | instid1(VALU_DEP_1)
	v_fma_f64 v[88:89], -v[86:87], v[86:87], v[80:81]
	v_fmac_f64_e32 v[86:87], v[88:89], v[84:85]
	v_cndmask_b32_e64 v84, 0, 0xffffff80, vcc_lo
	v_cmp_class_f64_e64 vcc_lo, v[80:81], 0x260
	s_delay_alu instid0(VALU_DEP_2) | instskip(NEXT) | instid1(VALU_DEP_1)
	v_ldexp_f64 v[84:85], v[86:87], v84
	v_dual_cndmask_b32 v81, v85, v81 :: v_dual_cndmask_b32 v80, v84, v80
	s_delay_alu instid0(VALU_DEP_1) | instskip(SKIP_1) | instid1(VALU_DEP_2)
	v_div_scale_f64 v[84:85], null, v[46:47], v[46:47], v[80:81]
	v_div_scale_f64 v[90:91], vcc_lo, v[80:81], v[46:47], v[80:81]
	v_rcp_f64_e32 v[86:87], v[84:85]
	v_nop
	s_delay_alu instid0(TRANS32_DEP_1) | instskip(NEXT) | instid1(VALU_DEP_1)
	v_fma_f64 v[88:89], -v[84:85], v[86:87], 1.0
	v_fmac_f64_e32 v[86:87], v[86:87], v[88:89]
	s_delay_alu instid0(VALU_DEP_1) | instskip(NEXT) | instid1(VALU_DEP_1)
	v_fma_f64 v[88:89], -v[84:85], v[86:87], 1.0
	v_fmac_f64_e32 v[86:87], v[86:87], v[88:89]
	s_delay_alu instid0(VALU_DEP_1) | instskip(NEXT) | instid1(VALU_DEP_1)
	v_mul_f64_e32 v[88:89], v[90:91], v[86:87]
	v_fma_f64 v[84:85], -v[84:85], v[88:89], v[90:91]
	s_delay_alu instid0(VALU_DEP_1) | instskip(NEXT) | instid1(VALU_DEP_1)
	v_div_fmas_f64 v[84:85], v[84:85], v[86:87], v[88:89]
	v_div_fixup_f64 v[80:81], v[84:85], v[46:47], v[80:81]
	v_mul_f64_e32 v[84:85], v[6:7], v[68:69]
	s_delay_alu instid0(VALU_DEP_2) | instskip(NEXT) | instid1(VALU_DEP_1)
	v_add_f64_e32 v[80:81], s[18:19], v[80:81]
	v_div_scale_f64 v[86:87], null, v[80:81], v[80:81], v[84:85]
	s_delay_alu instid0(VALU_DEP_1) | instskip(SKIP_1) | instid1(TRANS32_DEP_1)
	v_rcp_f64_e32 v[88:89], v[86:87]
	v_nop
	v_fma_f64 v[90:91], -v[86:87], v[88:89], 1.0
	s_delay_alu instid0(VALU_DEP_1) | instskip(NEXT) | instid1(VALU_DEP_1)
	v_fmac_f64_e32 v[88:89], v[88:89], v[90:91]
	v_fma_f64 v[90:91], -v[86:87], v[88:89], 1.0
	s_delay_alu instid0(VALU_DEP_1) | instskip(SKIP_1) | instid1(VALU_DEP_1)
	v_fmac_f64_e32 v[88:89], v[88:89], v[90:91]
	v_div_scale_f64 v[90:91], vcc_lo, v[84:85], v[80:81], v[84:85]
	v_mul_f64_e32 v[92:93], v[90:91], v[88:89]
	s_delay_alu instid0(VALU_DEP_1) | instskip(NEXT) | instid1(VALU_DEP_1)
	v_fma_f64 v[86:87], -v[86:87], v[92:93], v[90:91]
	v_div_fmas_f64 v[86:87], v[86:87], v[88:89], v[92:93]
	v_fma_f64 v[88:89], -v[8:9], v[74:75], v[74:75]
	s_delay_alu instid0(VALU_DEP_2) | instskip(NEXT) | instid1(VALU_DEP_2)
	v_div_fixup_f64 v[80:81], v[86:87], v[80:81], v[84:85]
	v_dual_cndmask_b32 v75, v75, v89, s0 :: v_dual_cndmask_b32 v74, v74, v88, s0
	s_delay_alu instid0(VALU_DEP_1)
	v_add_f64_e64 v[74:75], v[74:75], -v[80:81]
	v_add_nc_u64_e32 v[80:81], s[6:7], v[10:11]
	global_store_b64 v[80:81], v[74:75], off
.LBB1_48:                               ;   in Loop: Header=BB1_24 Depth=1
	s_wait_xcnt 0x0
	s_or_b32 exec_lo, exec_lo, s22
	v_xor_b32_e32 v74, 0x80000000, v53
	s_delay_alu instid0(VALU_DEP_1) | instskip(NEXT) | instid1(VALU_DEP_1)
	v_dual_cndmask_b32 v75, v53, v74, s2 :: v_dual_mov_b32 v74, v52
	v_mul_f64_e32 v[84:85], v[74:75], v[74:75]
	v_fma_f64 v[80:81], -s[8:9], v[74:75], v[74:75]
	s_delay_alu instid0(VALU_DEP_2) | instskip(NEXT) | instid1(VALU_DEP_2)
	v_fma_f64 v[74:75], -s[10:11], v[84:85], v[84:85]
	v_fmac_f64_e32 v[80:81], s[8:9], v[82:83]
	s_delay_alu instid0(VALU_DEP_2)
	v_fmac_f64_e32 v[74:75], s[10:11], v[78:79]
	s_and_saveexec_b32 s22, s3
	s_cbranch_execz .LBB1_50
; %bb.49:                               ;   in Loop: Header=BB1_24 Depth=1
	s_delay_alu instid0(VALU_DEP_1) | instskip(SKIP_1) | instid1(VALU_DEP_1)
	v_cmp_gt_f64_e32 vcc_lo, 0x10000000, v[74:75]
	v_cndmask_b32_e64 v78, 0, 0x100, vcc_lo
	v_ldexp_f64 v[78:79], v[74:75], v78
	s_delay_alu instid0(VALU_DEP_1) | instskip(SKIP_1) | instid1(TRANS32_DEP_1)
	v_rsq_f64_e32 v[82:83], v[78:79]
	v_nop
	v_mul_f64_e32 v[84:85], v[78:79], v[82:83]
	v_mul_f64_e32 v[82:83], 0.5, v[82:83]
	s_delay_alu instid0(VALU_DEP_1) | instskip(NEXT) | instid1(VALU_DEP_1)
	v_fma_f64 v[86:87], -v[82:83], v[84:85], 0.5
	v_fmac_f64_e32 v[84:85], v[84:85], v[86:87]
	v_fmac_f64_e32 v[82:83], v[82:83], v[86:87]
	s_delay_alu instid0(VALU_DEP_2) | instskip(NEXT) | instid1(VALU_DEP_1)
	v_fma_f64 v[86:87], -v[84:85], v[84:85], v[78:79]
	v_fmac_f64_e32 v[84:85], v[86:87], v[82:83]
	s_delay_alu instid0(VALU_DEP_1) | instskip(NEXT) | instid1(VALU_DEP_1)
	v_fma_f64 v[86:87], -v[84:85], v[84:85], v[78:79]
	v_fmac_f64_e32 v[84:85], v[86:87], v[82:83]
	v_cndmask_b32_e64 v82, 0, 0xffffff80, vcc_lo
	v_cmp_class_f64_e64 vcc_lo, v[78:79], 0x260
	s_delay_alu instid0(VALU_DEP_2) | instskip(NEXT) | instid1(VALU_DEP_1)
	v_ldexp_f64 v[82:83], v[84:85], v82
	v_dual_cndmask_b32 v79, v83, v79 :: v_dual_cndmask_b32 v78, v82, v78
	s_delay_alu instid0(VALU_DEP_1) | instskip(SKIP_1) | instid1(VALU_DEP_2)
	v_div_scale_f64 v[82:83], null, v[46:47], v[46:47], v[78:79]
	v_div_scale_f64 v[88:89], vcc_lo, v[78:79], v[46:47], v[78:79]
	v_rcp_f64_e32 v[84:85], v[82:83]
	v_nop
	s_delay_alu instid0(TRANS32_DEP_1) | instskip(NEXT) | instid1(VALU_DEP_1)
	v_fma_f64 v[86:87], -v[82:83], v[84:85], 1.0
	v_fmac_f64_e32 v[84:85], v[84:85], v[86:87]
	s_delay_alu instid0(VALU_DEP_1) | instskip(NEXT) | instid1(VALU_DEP_1)
	v_fma_f64 v[86:87], -v[82:83], v[84:85], 1.0
	v_fmac_f64_e32 v[84:85], v[84:85], v[86:87]
	s_delay_alu instid0(VALU_DEP_1) | instskip(NEXT) | instid1(VALU_DEP_1)
	v_mul_f64_e32 v[86:87], v[88:89], v[84:85]
	v_fma_f64 v[82:83], -v[82:83], v[86:87], v[88:89]
	s_delay_alu instid0(VALU_DEP_1) | instskip(NEXT) | instid1(VALU_DEP_1)
	v_div_fmas_f64 v[82:83], v[82:83], v[84:85], v[86:87]
	v_div_fixup_f64 v[78:79], v[82:83], v[46:47], v[78:79]
	v_mul_f64_e32 v[82:83], v[6:7], v[80:81]
	s_delay_alu instid0(VALU_DEP_2) | instskip(NEXT) | instid1(VALU_DEP_1)
	v_add_f64_e32 v[78:79], s[18:19], v[78:79]
	v_div_scale_f64 v[84:85], null, v[78:79], v[78:79], v[82:83]
	s_delay_alu instid0(VALU_DEP_1) | instskip(SKIP_1) | instid1(TRANS32_DEP_1)
	v_rcp_f64_e32 v[86:87], v[84:85]
	v_nop
	v_fma_f64 v[88:89], -v[84:85], v[86:87], 1.0
	s_delay_alu instid0(VALU_DEP_1) | instskip(NEXT) | instid1(VALU_DEP_1)
	v_fmac_f64_e32 v[86:87], v[86:87], v[88:89]
	v_fma_f64 v[88:89], -v[84:85], v[86:87], 1.0
	s_delay_alu instid0(VALU_DEP_1) | instskip(SKIP_1) | instid1(VALU_DEP_1)
	v_fmac_f64_e32 v[86:87], v[86:87], v[88:89]
	v_div_scale_f64 v[88:89], vcc_lo, v[82:83], v[78:79], v[82:83]
	v_mul_f64_e32 v[90:91], v[88:89], v[86:87]
	s_delay_alu instid0(VALU_DEP_1) | instskip(NEXT) | instid1(VALU_DEP_1)
	v_fma_f64 v[84:85], -v[84:85], v[90:91], v[88:89]
	v_div_fmas_f64 v[84:85], v[84:85], v[86:87], v[90:91]
	v_fma_f64 v[86:87], -v[8:9], v[66:67], v[66:67]
	s_delay_alu instid0(VALU_DEP_2) | instskip(NEXT) | instid1(VALU_DEP_2)
	v_div_fixup_f64 v[78:79], v[84:85], v[78:79], v[82:83]
	v_dual_cndmask_b32 v67, v67, v87, s0 :: v_dual_cndmask_b32 v66, v66, v86, s0
	s_delay_alu instid0(VALU_DEP_1)
	v_add_f64_e64 v[66:67], v[66:67], -v[78:79]
	v_add_nc_u64_e32 v[78:79], s[6:7], v[40:41]
	global_store_b64 v[78:79], v[66:67], off
.LBB1_50:                               ;   in Loop: Header=BB1_24 Depth=1
	s_wait_xcnt 0x0
	s_or_b32 exec_lo, exec_lo, s22
	v_xor_b32_e32 v66, 0x80000000, v55
	s_delay_alu instid0(VALU_DEP_1) | instskip(NEXT) | instid1(VALU_DEP_1)
	v_dual_cndmask_b32 v67, v55, v66, s2 :: v_dual_mov_b32 v66, v54
	v_mul_f64_e32 v[82:83], v[66:67], v[66:67]
	v_fma_f64 v[78:79], -s[8:9], v[66:67], v[66:67]
	s_delay_alu instid0(VALU_DEP_2) | instskip(NEXT) | instid1(VALU_DEP_2)
	v_fma_f64 v[66:67], -s[10:11], v[82:83], v[82:83]
	v_fmac_f64_e32 v[78:79], s[8:9], v[76:77]
	s_delay_alu instid0(VALU_DEP_2)
	v_fmac_f64_e32 v[66:67], s[10:11], v[72:73]
	s_and_saveexec_b32 s22, s4
	s_cbranch_execz .LBB1_52
; %bb.51:                               ;   in Loop: Header=BB1_24 Depth=1
	s_delay_alu instid0(VALU_DEP_1) | instskip(SKIP_1) | instid1(VALU_DEP_1)
	v_cmp_gt_f64_e32 vcc_lo, 0x10000000, v[66:67]
	v_cndmask_b32_e64 v72, 0, 0x100, vcc_lo
	v_ldexp_f64 v[72:73], v[66:67], v72
	s_delay_alu instid0(VALU_DEP_1) | instskip(SKIP_1) | instid1(TRANS32_DEP_1)
	v_rsq_f64_e32 v[76:77], v[72:73]
	v_nop
	v_mul_f64_e32 v[82:83], v[72:73], v[76:77]
	v_mul_f64_e32 v[76:77], 0.5, v[76:77]
	s_delay_alu instid0(VALU_DEP_1) | instskip(NEXT) | instid1(VALU_DEP_1)
	v_fma_f64 v[84:85], -v[76:77], v[82:83], 0.5
	v_fmac_f64_e32 v[82:83], v[82:83], v[84:85]
	v_fmac_f64_e32 v[76:77], v[76:77], v[84:85]
	s_delay_alu instid0(VALU_DEP_2) | instskip(NEXT) | instid1(VALU_DEP_1)
	v_fma_f64 v[84:85], -v[82:83], v[82:83], v[72:73]
	v_fmac_f64_e32 v[82:83], v[84:85], v[76:77]
	s_delay_alu instid0(VALU_DEP_1) | instskip(NEXT) | instid1(VALU_DEP_1)
	v_fma_f64 v[84:85], -v[82:83], v[82:83], v[72:73]
	v_fmac_f64_e32 v[82:83], v[84:85], v[76:77]
	v_cndmask_b32_e64 v76, 0, 0xffffff80, vcc_lo
	v_cmp_class_f64_e64 vcc_lo, v[72:73], 0x260
	s_delay_alu instid0(VALU_DEP_2) | instskip(NEXT) | instid1(VALU_DEP_1)
	v_ldexp_f64 v[76:77], v[82:83], v76
	v_dual_cndmask_b32 v73, v77, v73 :: v_dual_cndmask_b32 v72, v76, v72
	s_delay_alu instid0(VALU_DEP_1) | instskip(SKIP_1) | instid1(VALU_DEP_2)
	v_div_scale_f64 v[76:77], null, v[46:47], v[46:47], v[72:73]
	v_div_scale_f64 v[86:87], vcc_lo, v[72:73], v[46:47], v[72:73]
	v_rcp_f64_e32 v[82:83], v[76:77]
	v_nop
	s_delay_alu instid0(TRANS32_DEP_1) | instskip(NEXT) | instid1(VALU_DEP_1)
	v_fma_f64 v[84:85], -v[76:77], v[82:83], 1.0
	v_fmac_f64_e32 v[82:83], v[82:83], v[84:85]
	s_delay_alu instid0(VALU_DEP_1) | instskip(NEXT) | instid1(VALU_DEP_1)
	v_fma_f64 v[84:85], -v[76:77], v[82:83], 1.0
	v_fmac_f64_e32 v[82:83], v[82:83], v[84:85]
	s_delay_alu instid0(VALU_DEP_1) | instskip(NEXT) | instid1(VALU_DEP_1)
	v_mul_f64_e32 v[84:85], v[86:87], v[82:83]
	v_fma_f64 v[76:77], -v[76:77], v[84:85], v[86:87]
	s_delay_alu instid0(VALU_DEP_1) | instskip(NEXT) | instid1(VALU_DEP_1)
	v_div_fmas_f64 v[76:77], v[76:77], v[82:83], v[84:85]
	v_div_fixup_f64 v[72:73], v[76:77], v[46:47], v[72:73]
	v_mul_f64_e32 v[76:77], v[6:7], v[78:79]
	s_delay_alu instid0(VALU_DEP_2) | instskip(NEXT) | instid1(VALU_DEP_1)
	v_add_f64_e32 v[72:73], s[18:19], v[72:73]
	v_div_scale_f64 v[82:83], null, v[72:73], v[72:73], v[76:77]
	s_delay_alu instid0(VALU_DEP_1) | instskip(SKIP_1) | instid1(TRANS32_DEP_1)
	v_rcp_f64_e32 v[84:85], v[82:83]
	v_nop
	v_fma_f64 v[86:87], -v[82:83], v[84:85], 1.0
	s_delay_alu instid0(VALU_DEP_1) | instskip(NEXT) | instid1(VALU_DEP_1)
	v_fmac_f64_e32 v[84:85], v[84:85], v[86:87]
	v_fma_f64 v[86:87], -v[82:83], v[84:85], 1.0
	s_delay_alu instid0(VALU_DEP_1) | instskip(SKIP_1) | instid1(VALU_DEP_1)
	v_fmac_f64_e32 v[84:85], v[84:85], v[86:87]
	v_div_scale_f64 v[86:87], vcc_lo, v[76:77], v[72:73], v[76:77]
	v_mul_f64_e32 v[88:89], v[86:87], v[84:85]
	s_delay_alu instid0(VALU_DEP_1) | instskip(NEXT) | instid1(VALU_DEP_1)
	v_fma_f64 v[82:83], -v[82:83], v[88:89], v[86:87]
	v_div_fmas_f64 v[82:83], v[82:83], v[84:85], v[88:89]
	v_fma_f64 v[84:85], -v[8:9], v[60:61], v[60:61]
	s_delay_alu instid0(VALU_DEP_1) | instskip(NEXT) | instid1(VALU_DEP_3)
	v_cndmask_b32_e64 v61, v61, v85, s0
	v_div_fixup_f64 v[72:73], v[82:83], v[72:73], v[76:77]
	s_delay_alu instid0(VALU_DEP_3) | instskip(NEXT) | instid1(VALU_DEP_1)
	v_cndmask_b32_e64 v60, v60, v84, s0
	v_add_f64_e64 v[60:61], v[60:61], -v[72:73]
	v_add_nc_u64_e32 v[72:73], s[6:7], v[30:31]
	global_store_b64 v[72:73], v[60:61], off
.LBB1_52:                               ;   in Loop: Header=BB1_24 Depth=1
	s_wait_xcnt 0x0
	s_or_b32 exec_lo, exec_lo, s22
	v_xor_b32_e32 v60, 0x80000000, v57
	s_delay_alu instid0(VALU_DEP_1) | instskip(NEXT) | instid1(VALU_DEP_1)
	v_dual_cndmask_b32 v61, v57, v60, s2 :: v_dual_mov_b32 v60, v56
	v_mul_f64_e32 v[76:77], v[60:61], v[60:61]
	v_fma_f64 v[72:73], -s[8:9], v[60:61], v[60:61]
	s_delay_alu instid0(VALU_DEP_2) | instskip(NEXT) | instid1(VALU_DEP_2)
	v_fma_f64 v[60:61], -s[10:11], v[76:77], v[76:77]
	v_fmac_f64_e32 v[72:73], s[8:9], v[70:71]
	s_delay_alu instid0(VALU_DEP_2)
	v_fmac_f64_e32 v[60:61], s[10:11], v[64:65]
	s_and_saveexec_b32 s22, s5
	s_cbranch_execz .LBB1_54
; %bb.53:                               ;   in Loop: Header=BB1_24 Depth=1
	s_delay_alu instid0(VALU_DEP_1) | instskip(SKIP_1) | instid1(VALU_DEP_1)
	v_cmp_gt_f64_e32 vcc_lo, 0x10000000, v[60:61]
	v_cndmask_b32_e64 v64, 0, 0x100, vcc_lo
	v_ldexp_f64 v[64:65], v[60:61], v64
	s_delay_alu instid0(VALU_DEP_1) | instskip(SKIP_1) | instid1(TRANS32_DEP_1)
	v_rsq_f64_e32 v[70:71], v[64:65]
	v_nop
	v_mul_f64_e32 v[76:77], v[64:65], v[70:71]
	v_mul_f64_e32 v[70:71], 0.5, v[70:71]
	s_delay_alu instid0(VALU_DEP_1) | instskip(NEXT) | instid1(VALU_DEP_1)
	v_fma_f64 v[82:83], -v[70:71], v[76:77], 0.5
	v_fmac_f64_e32 v[76:77], v[76:77], v[82:83]
	v_fmac_f64_e32 v[70:71], v[70:71], v[82:83]
	s_delay_alu instid0(VALU_DEP_2) | instskip(NEXT) | instid1(VALU_DEP_1)
	v_fma_f64 v[82:83], -v[76:77], v[76:77], v[64:65]
	v_fmac_f64_e32 v[76:77], v[82:83], v[70:71]
	s_delay_alu instid0(VALU_DEP_1) | instskip(NEXT) | instid1(VALU_DEP_1)
	v_fma_f64 v[82:83], -v[76:77], v[76:77], v[64:65]
	v_fmac_f64_e32 v[76:77], v[82:83], v[70:71]
	v_cndmask_b32_e64 v70, 0, 0xffffff80, vcc_lo
	v_cmp_class_f64_e64 vcc_lo, v[64:65], 0x260
	s_delay_alu instid0(VALU_DEP_2) | instskip(NEXT) | instid1(VALU_DEP_1)
	v_ldexp_f64 v[70:71], v[76:77], v70
	v_dual_cndmask_b32 v65, v71, v65 :: v_dual_cndmask_b32 v64, v70, v64
	s_delay_alu instid0(VALU_DEP_1) | instskip(SKIP_1) | instid1(VALU_DEP_2)
	v_div_scale_f64 v[70:71], null, v[46:47], v[46:47], v[64:65]
	v_div_scale_f64 v[84:85], vcc_lo, v[64:65], v[46:47], v[64:65]
	v_rcp_f64_e32 v[76:77], v[70:71]
	v_nop
	s_delay_alu instid0(TRANS32_DEP_1) | instskip(NEXT) | instid1(VALU_DEP_1)
	v_fma_f64 v[82:83], -v[70:71], v[76:77], 1.0
	v_fmac_f64_e32 v[76:77], v[76:77], v[82:83]
	s_delay_alu instid0(VALU_DEP_1) | instskip(NEXT) | instid1(VALU_DEP_1)
	v_fma_f64 v[82:83], -v[70:71], v[76:77], 1.0
	v_fmac_f64_e32 v[76:77], v[76:77], v[82:83]
	s_delay_alu instid0(VALU_DEP_1) | instskip(NEXT) | instid1(VALU_DEP_1)
	v_mul_f64_e32 v[82:83], v[84:85], v[76:77]
	v_fma_f64 v[70:71], -v[70:71], v[82:83], v[84:85]
	s_delay_alu instid0(VALU_DEP_1) | instskip(NEXT) | instid1(VALU_DEP_1)
	v_div_fmas_f64 v[70:71], v[70:71], v[76:77], v[82:83]
	v_div_fixup_f64 v[64:65], v[70:71], v[46:47], v[64:65]
	v_mul_f64_e32 v[70:71], v[6:7], v[72:73]
	s_delay_alu instid0(VALU_DEP_2) | instskip(NEXT) | instid1(VALU_DEP_1)
	v_add_f64_e32 v[64:65], s[18:19], v[64:65]
	v_div_scale_f64 v[76:77], null, v[64:65], v[64:65], v[70:71]
	s_delay_alu instid0(VALU_DEP_1) | instskip(SKIP_1) | instid1(TRANS32_DEP_1)
	v_rcp_f64_e32 v[82:83], v[76:77]
	v_nop
	v_fma_f64 v[84:85], -v[76:77], v[82:83], 1.0
	s_delay_alu instid0(VALU_DEP_1) | instskip(NEXT) | instid1(VALU_DEP_1)
	v_fmac_f64_e32 v[82:83], v[82:83], v[84:85]
	v_fma_f64 v[84:85], -v[76:77], v[82:83], 1.0
	s_delay_alu instid0(VALU_DEP_1) | instskip(SKIP_1) | instid1(VALU_DEP_1)
	v_fmac_f64_e32 v[82:83], v[82:83], v[84:85]
	v_div_scale_f64 v[84:85], vcc_lo, v[70:71], v[64:65], v[70:71]
	v_mul_f64_e32 v[86:87], v[84:85], v[82:83]
	s_delay_alu instid0(VALU_DEP_1) | instskip(NEXT) | instid1(VALU_DEP_1)
	v_fma_f64 v[76:77], -v[76:77], v[86:87], v[84:85]
	v_div_fmas_f64 v[76:77], v[76:77], v[82:83], v[86:87]
	v_fma_f64 v[82:83], -v[8:9], v[58:59], v[58:59]
	s_delay_alu instid0(VALU_DEP_1) | instskip(NEXT) | instid1(VALU_DEP_3)
	v_cndmask_b32_e64 v59, v59, v83, s0
	v_div_fixup_f64 v[64:65], v[76:77], v[64:65], v[70:71]
	s_delay_alu instid0(VALU_DEP_3) | instskip(NEXT) | instid1(VALU_DEP_1)
	v_cndmask_b32_e64 v58, v58, v82, s0
	v_add_f64_e64 v[58:59], v[58:59], -v[64:65]
	v_add_nc_u64_e32 v[64:65], s[6:7], v[20:21]
	global_store_b64 v[64:65], v[58:59], off
.LBB1_54:                               ;   in Loop: Header=BB1_24 Depth=1
	s_wait_xcnt 0x0
	s_or_b32 exec_lo, exec_lo, s22
	s_delay_alu instid0(SALU_CYCLE_1)
	s_and_not1_b32 vcc_lo, exec_lo, s26
	s_cbranch_vccnz .LBB1_61
; %bb.55:                               ;   in Loop: Header=BB1_24 Depth=1
	s_and_saveexec_b32 s22, s1
	s_cbranch_execnz .LBB1_79
; %bb.56:                               ;   in Loop: Header=BB1_24 Depth=1
	s_or_b32 exec_lo, exec_lo, s22
	s_and_saveexec_b32 s22, s3
	s_cbranch_execnz .LBB1_80
.LBB1_57:                               ;   in Loop: Header=BB1_24 Depth=1
	s_or_b32 exec_lo, exec_lo, s22
	s_and_saveexec_b32 s22, s4
	s_cbranch_execnz .LBB1_81
.LBB1_58:                               ;   in Loop: Header=BB1_24 Depth=1
	s_or_b32 exec_lo, exec_lo, s22
	s_and_saveexec_b32 s22, s5
	s_cbranch_execz .LBB1_60
.LBB1_59:                               ;   in Loop: Header=BB1_24 Depth=1
	v_add_nc_u64_e32 v[50:51], s[6:7], v[22:23]
	global_store_b64 v[50:51], v[56:57], off
.LBB1_60:                               ;   in Loop: Header=BB1_24 Depth=1
	s_wait_xcnt 0x0
	s_or_b32 exec_lo, exec_lo, s22
.LBB1_61:                               ;   in Loop: Header=BB1_24 Depth=1
	s_and_saveexec_b32 s22, s1
	s_cbranch_execnz .LBB1_71
; %bb.62:                               ;   in Loop: Header=BB1_24 Depth=1
	s_or_b32 exec_lo, exec_lo, s22
	s_and_saveexec_b32 s22, s3
	s_cbranch_execnz .LBB1_72
.LBB1_63:                               ;   in Loop: Header=BB1_24 Depth=1
	s_or_b32 exec_lo, exec_lo, s22
	s_and_saveexec_b32 s22, s4
	s_cbranch_execnz .LBB1_73
.LBB1_64:                               ;   in Loop: Header=BB1_24 Depth=1
	s_or_b32 exec_lo, exec_lo, s22
	s_and_saveexec_b32 s22, s5
	s_cbranch_execnz .LBB1_74
.LBB1_65:                               ;   in Loop: Header=BB1_24 Depth=1
	s_or_b32 exec_lo, exec_lo, s22
	s_and_saveexec_b32 s22, s1
	s_cbranch_execnz .LBB1_75
.LBB1_66:                               ;   in Loop: Header=BB1_24 Depth=1
	s_or_b32 exec_lo, exec_lo, s22
	s_and_saveexec_b32 s1, s3
	s_cbranch_execnz .LBB1_76
.LBB1_67:                               ;   in Loop: Header=BB1_24 Depth=1
	s_or_b32 exec_lo, exec_lo, s1
	s_and_saveexec_b32 s1, s4
	s_cbranch_execnz .LBB1_77
.LBB1_68:                               ;   in Loop: Header=BB1_24 Depth=1
	s_or_b32 exec_lo, exec_lo, s1
	s_and_saveexec_b32 s1, s5
	s_cbranch_execz .LBB1_23
	s_branch .LBB1_78
.LBB1_69:                               ;   in Loop: Header=BB1_24 Depth=1
	v_add_nc_u64_e32 v[62:63], s[6:7], v[20:21]
	v_add_nc_u64_e32 v[68:69], s[6:7], v[22:23]
	global_load_b64 v[58:59], v[62:63], off
	global_load_b64 v[56:57], v[68:69], off
	s_wait_xcnt 0x0
	s_or_b32 exec_lo, exec_lo, s22
	v_mov_b64_e32 v[70:71], 0
	s_and_saveexec_b32 s22, s5
	s_cbranch_execz .LBB1_38
.LBB1_70:                               ;   in Loop: Header=BB1_24 Depth=1
	v_add_nc_u64_e32 v[62:63], s[6:7], v[24:25]
	v_add_nc_u64_e32 v[68:69], s[6:7], v[26:27]
	global_load_b64 v[70:71], v[62:63], off
	global_load_b64 v[64:65], v[68:69], off
	s_wait_xcnt 0x0
	s_or_b32 exec_lo, exec_lo, s22
	s_delay_alu instid0(SALU_CYCLE_1)
	s_and_not1_b32 vcc_lo, exec_lo, s26
	s_cbranch_vccz .LBB1_39
	s_branch .LBB1_40
.LBB1_71:                               ;   in Loop: Header=BB1_24 Depth=1
	v_add_nc_u64_e32 v[50:51], s[6:7], v[14:15]
	global_store_b64 v[50:51], v[68:69], off
	s_wait_xcnt 0x0
	s_or_b32 exec_lo, exec_lo, s22
	s_and_saveexec_b32 s22, s3
	s_cbranch_execz .LBB1_63
.LBB1_72:                               ;   in Loop: Header=BB1_24 Depth=1
	v_add_nc_u64_e32 v[50:51], s[6:7], v[44:45]
	global_store_b64 v[50:51], v[80:81], off
	s_wait_xcnt 0x0
	s_or_b32 exec_lo, exec_lo, s22
	s_and_saveexec_b32 s22, s4
	s_cbranch_execz .LBB1_64
.LBB1_73:                               ;   in Loop: Header=BB1_24 Depth=1
	v_add_nc_u64_e32 v[50:51], s[6:7], v[34:35]
	global_store_b64 v[50:51], v[78:79], off
	s_wait_xcnt 0x0
	s_or_b32 exec_lo, exec_lo, s22
	s_and_saveexec_b32 s22, s5
	s_cbranch_execz .LBB1_65
.LBB1_74:                               ;   in Loop: Header=BB1_24 Depth=1
	v_add_nc_u64_e32 v[50:51], s[6:7], v[24:25]
	global_store_b64 v[50:51], v[72:73], off
	s_wait_xcnt 0x0
	s_or_b32 exec_lo, exec_lo, s22
	s_and_saveexec_b32 s22, s1
	s_cbranch_execz .LBB1_66
.LBB1_75:                               ;   in Loop: Header=BB1_24 Depth=1
	v_add_nc_u64_e32 v[50:51], s[6:7], v[16:17]
	global_store_b64 v[50:51], v[62:63], off
	s_wait_xcnt 0x0
	s_or_b32 exec_lo, exec_lo, s22
	s_and_saveexec_b32 s1, s3
	s_cbranch_execz .LBB1_67
.LBB1_76:                               ;   in Loop: Header=BB1_24 Depth=1
	v_add_nc_u64_e32 v[50:51], s[6:7], v[48:49]
	global_store_b64 v[50:51], v[74:75], off
	s_wait_xcnt 0x0
	s_or_b32 exec_lo, exec_lo, s1
	s_and_saveexec_b32 s1, s4
	s_cbranch_execz .LBB1_68
.LBB1_77:                               ;   in Loop: Header=BB1_24 Depth=1
	v_add_nc_u64_e32 v[50:51], s[6:7], v[36:37]
	global_store_b64 v[50:51], v[66:67], off
	s_wait_xcnt 0x0
	s_or_b32 exec_lo, exec_lo, s1
	s_and_saveexec_b32 s1, s5
	s_cbranch_execz .LBB1_23
.LBB1_78:                               ;   in Loop: Header=BB1_24 Depth=1
	v_add_nc_u64_e32 v[50:51], s[6:7], v[26:27]
	global_store_b64 v[50:51], v[60:61], off
	s_branch .LBB1_23
.LBB1_79:                               ;   in Loop: Header=BB1_24 Depth=1
	v_add_nc_u64_e32 v[58:59], s[6:7], v[12:13]
	global_store_b64 v[58:59], v[50:51], off
	s_wait_xcnt 0x0
	s_or_b32 exec_lo, exec_lo, s22
	s_and_saveexec_b32 s22, s3
	s_cbranch_execz .LBB1_57
.LBB1_80:                               ;   in Loop: Header=BB1_24 Depth=1
	v_add_nc_u64_e32 v[50:51], s[6:7], v[42:43]
	global_store_b64 v[50:51], v[52:53], off
	s_wait_xcnt 0x0
	s_or_b32 exec_lo, exec_lo, s22
	s_and_saveexec_b32 s22, s4
	s_cbranch_execz .LBB1_58
.LBB1_81:                               ;   in Loop: Header=BB1_24 Depth=1
	v_add_nc_u64_e32 v[50:51], s[6:7], v[32:33]
	global_store_b64 v[50:51], v[54:55], off
	s_wait_xcnt 0x0
	s_or_b32 exec_lo, exec_lo, s22
	s_and_saveexec_b32 s22, s5
	s_cbranch_execnz .LBB1_59
	s_branch .LBB1_60
.LBB1_82:
	s_sendmsg sendmsg(MSG_DEALLOC_VGPRS)
	s_endpgm
	.section	.rodata,"a",@progbits
	.p2align	6, 0x0
	.amdhsa_kernel _ZN2at6native12_GLOBAL__N_125multi_tensor_apply_kernelINS1_32FusedOptimizerTensorListMetadataILi4EEENS1_20FusedAdamMathFunctorIdLi4ELNS0_9ADAM_MODEE1ELb0EEEJPKfdddddbS9_S9_EEEvT_T0_DpT1_
		.amdhsa_group_segment_fixed_size 0
		.amdhsa_private_segment_fixed_size 0
		.amdhsa_kernarg_size 3672
		.amdhsa_user_sgpr_count 2
		.amdhsa_user_sgpr_dispatch_ptr 0
		.amdhsa_user_sgpr_queue_ptr 0
		.amdhsa_user_sgpr_kernarg_segment_ptr 1
		.amdhsa_user_sgpr_dispatch_id 0
		.amdhsa_user_sgpr_kernarg_preload_length 0
		.amdhsa_user_sgpr_kernarg_preload_offset 0
		.amdhsa_user_sgpr_private_segment_size 0
		.amdhsa_wavefront_size32 1
		.amdhsa_uses_dynamic_stack 0
		.amdhsa_enable_private_segment 0
		.amdhsa_system_sgpr_workgroup_id_x 1
		.amdhsa_system_sgpr_workgroup_id_y 0
		.amdhsa_system_sgpr_workgroup_id_z 0
		.amdhsa_system_sgpr_workgroup_info 0
		.amdhsa_system_vgpr_workitem_id 0
		.amdhsa_next_free_vgpr 98
		.amdhsa_next_free_sgpr 44
		.amdhsa_named_barrier_count 0
		.amdhsa_reserve_vcc 1
		.amdhsa_float_round_mode_32 0
		.amdhsa_float_round_mode_16_64 0
		.amdhsa_float_denorm_mode_32 3
		.amdhsa_float_denorm_mode_16_64 3
		.amdhsa_fp16_overflow 0
		.amdhsa_memory_ordered 1
		.amdhsa_forward_progress 1
		.amdhsa_inst_pref_size 84
		.amdhsa_round_robin_scheduling 0
		.amdhsa_exception_fp_ieee_invalid_op 0
		.amdhsa_exception_fp_denorm_src 0
		.amdhsa_exception_fp_ieee_div_zero 0
		.amdhsa_exception_fp_ieee_overflow 0
		.amdhsa_exception_fp_ieee_underflow 0
		.amdhsa_exception_fp_ieee_inexact 0
		.amdhsa_exception_int_div_zero 0
	.end_amdhsa_kernel
	.section	.text._ZN2at6native12_GLOBAL__N_125multi_tensor_apply_kernelINS1_32FusedOptimizerTensorListMetadataILi4EEENS1_20FusedAdamMathFunctorIdLi4ELNS0_9ADAM_MODEE1ELb0EEEJPKfdddddbS9_S9_EEEvT_T0_DpT1_,"axG",@progbits,_ZN2at6native12_GLOBAL__N_125multi_tensor_apply_kernelINS1_32FusedOptimizerTensorListMetadataILi4EEENS1_20FusedAdamMathFunctorIdLi4ELNS0_9ADAM_MODEE1ELb0EEEJPKfdddddbS9_S9_EEEvT_T0_DpT1_,comdat
.Lfunc_end1:
	.size	_ZN2at6native12_GLOBAL__N_125multi_tensor_apply_kernelINS1_32FusedOptimizerTensorListMetadataILi4EEENS1_20FusedAdamMathFunctorIdLi4ELNS0_9ADAM_MODEE1ELb0EEEJPKfdddddbS9_S9_EEEvT_T0_DpT1_, .Lfunc_end1-_ZN2at6native12_GLOBAL__N_125multi_tensor_apply_kernelINS1_32FusedOptimizerTensorListMetadataILi4EEENS1_20FusedAdamMathFunctorIdLi4ELNS0_9ADAM_MODEE1ELb0EEEJPKfdddddbS9_S9_EEEvT_T0_DpT1_
                                        ; -- End function
	.set _ZN2at6native12_GLOBAL__N_125multi_tensor_apply_kernelINS1_32FusedOptimizerTensorListMetadataILi4EEENS1_20FusedAdamMathFunctorIdLi4ELNS0_9ADAM_MODEE1ELb0EEEJPKfdddddbS9_S9_EEEvT_T0_DpT1_.num_vgpr, 98
	.set _ZN2at6native12_GLOBAL__N_125multi_tensor_apply_kernelINS1_32FusedOptimizerTensorListMetadataILi4EEENS1_20FusedAdamMathFunctorIdLi4ELNS0_9ADAM_MODEE1ELb0EEEJPKfdddddbS9_S9_EEEvT_T0_DpT1_.num_agpr, 0
	.set _ZN2at6native12_GLOBAL__N_125multi_tensor_apply_kernelINS1_32FusedOptimizerTensorListMetadataILi4EEENS1_20FusedAdamMathFunctorIdLi4ELNS0_9ADAM_MODEE1ELb0EEEJPKfdddddbS9_S9_EEEvT_T0_DpT1_.numbered_sgpr, 44
	.set _ZN2at6native12_GLOBAL__N_125multi_tensor_apply_kernelINS1_32FusedOptimizerTensorListMetadataILi4EEENS1_20FusedAdamMathFunctorIdLi4ELNS0_9ADAM_MODEE1ELb0EEEJPKfdddddbS9_S9_EEEvT_T0_DpT1_.num_named_barrier, 0
	.set _ZN2at6native12_GLOBAL__N_125multi_tensor_apply_kernelINS1_32FusedOptimizerTensorListMetadataILi4EEENS1_20FusedAdamMathFunctorIdLi4ELNS0_9ADAM_MODEE1ELb0EEEJPKfdddddbS9_S9_EEEvT_T0_DpT1_.private_seg_size, 0
	.set _ZN2at6native12_GLOBAL__N_125multi_tensor_apply_kernelINS1_32FusedOptimizerTensorListMetadataILi4EEENS1_20FusedAdamMathFunctorIdLi4ELNS0_9ADAM_MODEE1ELb0EEEJPKfdddddbS9_S9_EEEvT_T0_DpT1_.uses_vcc, 1
	.set _ZN2at6native12_GLOBAL__N_125multi_tensor_apply_kernelINS1_32FusedOptimizerTensorListMetadataILi4EEENS1_20FusedAdamMathFunctorIdLi4ELNS0_9ADAM_MODEE1ELb0EEEJPKfdddddbS9_S9_EEEvT_T0_DpT1_.uses_flat_scratch, 0
	.set _ZN2at6native12_GLOBAL__N_125multi_tensor_apply_kernelINS1_32FusedOptimizerTensorListMetadataILi4EEENS1_20FusedAdamMathFunctorIdLi4ELNS0_9ADAM_MODEE1ELb0EEEJPKfdddddbS9_S9_EEEvT_T0_DpT1_.has_dyn_sized_stack, 0
	.set _ZN2at6native12_GLOBAL__N_125multi_tensor_apply_kernelINS1_32FusedOptimizerTensorListMetadataILi4EEENS1_20FusedAdamMathFunctorIdLi4ELNS0_9ADAM_MODEE1ELb0EEEJPKfdddddbS9_S9_EEEvT_T0_DpT1_.has_recursion, 0
	.set _ZN2at6native12_GLOBAL__N_125multi_tensor_apply_kernelINS1_32FusedOptimizerTensorListMetadataILi4EEENS1_20FusedAdamMathFunctorIdLi4ELNS0_9ADAM_MODEE1ELb0EEEJPKfdddddbS9_S9_EEEvT_T0_DpT1_.has_indirect_call, 0
	.section	.AMDGPU.csdata,"",@progbits
; Kernel info:
; codeLenInByte = 10664
; TotalNumSgprs: 46
; NumVgprs: 98
; ScratchSize: 0
; MemoryBound: 0
; FloatMode: 240
; IeeeMode: 1
; LDSByteSize: 0 bytes/workgroup (compile time only)
; SGPRBlocks: 0
; VGPRBlocks: 6
; NumSGPRsForWavesPerEU: 46
; NumVGPRsForWavesPerEU: 98
; NamedBarCnt: 0
; Occupancy: 9
; WaveLimiterHint : 0
; COMPUTE_PGM_RSRC2:SCRATCH_EN: 0
; COMPUTE_PGM_RSRC2:USER_SGPR: 2
; COMPUTE_PGM_RSRC2:TRAP_HANDLER: 0
; COMPUTE_PGM_RSRC2:TGID_X_EN: 1
; COMPUTE_PGM_RSRC2:TGID_Y_EN: 0
; COMPUTE_PGM_RSRC2:TGID_Z_EN: 0
; COMPUTE_PGM_RSRC2:TIDIG_COMP_CNT: 0
	.section	.text._ZN2at6native12_GLOBAL__N_125multi_tensor_apply_kernelINS1_32FusedOptimizerTensorListMetadataILi4EEENS1_20FusedAdamMathFunctorIfLi4ELNS0_9ADAM_MODEE1ELb0EEEJPKfdddddbS9_S9_EEEvT_T0_DpT1_,"axG",@progbits,_ZN2at6native12_GLOBAL__N_125multi_tensor_apply_kernelINS1_32FusedOptimizerTensorListMetadataILi4EEENS1_20FusedAdamMathFunctorIfLi4ELNS0_9ADAM_MODEE1ELb0EEEJPKfdddddbS9_S9_EEEvT_T0_DpT1_,comdat
	.globl	_ZN2at6native12_GLOBAL__N_125multi_tensor_apply_kernelINS1_32FusedOptimizerTensorListMetadataILi4EEENS1_20FusedAdamMathFunctorIfLi4ELNS0_9ADAM_MODEE1ELb0EEEJPKfdddddbS9_S9_EEEvT_T0_DpT1_ ; -- Begin function _ZN2at6native12_GLOBAL__N_125multi_tensor_apply_kernelINS1_32FusedOptimizerTensorListMetadataILi4EEENS1_20FusedAdamMathFunctorIfLi4ELNS0_9ADAM_MODEE1ELb0EEEJPKfdddddbS9_S9_EEEvT_T0_DpT1_
	.p2align	8
	.type	_ZN2at6native12_GLOBAL__N_125multi_tensor_apply_kernelINS1_32FusedOptimizerTensorListMetadataILi4EEENS1_20FusedAdamMathFunctorIfLi4ELNS0_9ADAM_MODEE1ELb0EEEJPKfdddddbS9_S9_EEEvT_T0_DpT1_,@function
_ZN2at6native12_GLOBAL__N_125multi_tensor_apply_kernelINS1_32FusedOptimizerTensorListMetadataILi4EEENS1_20FusedAdamMathFunctorIfLi4ELNS0_9ADAM_MODEE1ELb0EEEJPKfdddddbS9_S9_EEEvT_T0_DpT1_: ; @_ZN2at6native12_GLOBAL__N_125multi_tensor_apply_kernelINS1_32FusedOptimizerTensorListMetadataILi4EEENS1_20FusedAdamMathFunctorIfLi4ELNS0_9ADAM_MODEE1ELb0EEEJPKfdddddbS9_S9_EEEvT_T0_DpT1_
; %bb.0:
	s_bfe_u32 s2, ttmp6, 0x4000c
	s_and_b32 s3, ttmp6, 15
	s_add_co_i32 s2, s2, 1
	s_getreg_b32 s4, hwreg(HW_REG_IB_STS2, 6, 4)
	s_mul_i32 s2, ttmp9, s2
	s_delay_alu instid0(SALU_CYCLE_1)
	s_add_co_i32 s3, s3, s2
	s_cmp_eq_u32 s4, 0
	s_cselect_b32 s2, ttmp9, s3
	s_mov_b32 s3, 0
	v_mov_b32_e32 v1, s2
	global_load_u8 v1, v1, s[0:1] offset:1728
	s_clause 0x1
	s_load_b256 s[4:11], s[0:1], 0xd10
	s_load_b128 s[16:19], s[0:1], 0xd30
	s_wait_kmcnt 0x0
	s_cmp_eq_u64 s[4:5], 0
	s_wait_loadcnt 0x0
	v_readfirstlane_b32 s20, v1
	s_cbranch_scc1 .LBB2_20
; %bb.1:
	s_load_b32 s4, s[4:5], 0x0
	s_wait_xcnt 0x0
	s_wait_kmcnt 0x0
	v_mov_b32_e32 v37, s4
	s_cbranch_execnz .LBB2_3
.LBB2_2:
	v_cvt_f32_f64_e32 v37, s[6:7]
.LBB2_3:
	s_load_b128 s[12:15], s[0:1], 0xd48
	s_wait_kmcnt 0x0
	s_cmp_eq_u64 s[14:15], 0
	s_cselect_b32 s4, -1, 0
	s_delay_alu instid0(SALU_CYCLE_1)
	s_and_b32 vcc_lo, exec_lo, s4
	s_cbranch_vccnz .LBB2_5
; %bb.4:
	s_load_b32 s4, s[14:15], 0x0
	s_wait_kmcnt 0x0
	s_cmp_neq_f32 s4, 1.0
	s_cselect_b32 s4, -1, 0
.LBB2_5:
	s_delay_alu instid0(SALU_CYCLE_1)
	s_and_not1_b32 vcc_lo, exec_lo, s4
	s_cbranch_vccnz .LBB2_84
; %bb.6:
	v_cvt_f32_f64_e32 v36, s[10:11]
	s_and_b32 s6, s20, 0xff
	s_clause 0x2
	s_load_b64 s[4:5], s[0:1], s6 offset:0x5a0 scale_offset
	s_load_b32 s7, s[0:1], 0xd40
	s_load_b64 s[20:21], s[0:1], s6 offset:0x480 scale_offset
	v_cvt_f32_f64_e32 v38, s[8:9]
	v_cvt_f32_f64_e32 v40, s[16:17]
	;; [unrolled: 1-line block ×3, first 2 shown]
	s_wait_kmcnt 0x0
	s_load_b32 s10, s[4:5], 0x0
	s_wait_xcnt 0x0
	s_delay_alu instid0(VALU_DEP_4) | instskip(SKIP_3) | instid1(SALU_CYCLE_1)
	v_readfirstlane_b32 s5, v36
	s_cmp_neq_f32 s5, 1.0
	s_wait_kmcnt 0x0
	s_cselect_b32 s4, s10, 1.0
	s_cmp_neq_f32 s4, 0
	s_cselect_b32 s5, s5, 1.0
	s_delay_alu instid0(SALU_CYCLE_1) | instskip(NEXT) | instid1(VALU_DEP_1)
	v_cvt_f64_f32_e64 v[2:3], |s5|
	v_frexp_exp_i32_f64_e32 v1, v[2:3]
	v_frexp_mant_f32_e64 v2, |s5|
	s_delay_alu instid0(VALU_DEP_1) | instskip(SKIP_2) | instid1(SALU_CYCLE_1)
	v_readfirstlane_b32 s11, v2
	s_cmp_lt_f32 s11, 0x3f2aaaab
	s_cselect_b32 vcc_lo, -1, 0
	s_and_b32 s14, vcc_lo, exec_lo
	s_cselect_b32 s14, 2.0, 1.0
	s_delay_alu instid0(SALU_CYCLE_1) | instskip(NEXT) | instid1(SALU_CYCLE_3)
	s_mul_f32 s11, s11, s14
	s_add_f32 s14, s11, 1.0
	s_add_f32 s22, s11, -1.0
	s_delay_alu instid0(SALU_CYCLE_2) | instskip(SKIP_2) | instid1(SALU_CYCLE_2)
	v_s_rcp_f32 s15, s14
	s_add_f32 s25, s14, -1.0
	v_subrev_co_ci_u32_e64 v1, null, 0, v1, vcc_lo
	s_sub_f32 s11, s11, s25
	s_delay_alu instid0(TRANS32_DEP_1) | instskip(SKIP_1) | instid1(SALU_CYCLE_2)
	s_mul_f32 s23, s22, s15
	v_cvt_f32_i32_e32 v1, v1
	s_mul_f32 s24, s14, s23
	s_delay_alu instid0(SALU_CYCLE_3) | instskip(SKIP_1) | instid1(SALU_CYCLE_1)
	v_dual_mov_b32 v3, s22 :: v_dual_mov_b32 v4, s24
	s_xor_b32 s26, s24, 0x80000000
	s_fmac_f32 s26, s23, s14
	s_delay_alu instid0(SALU_CYCLE_3) | instskip(NEXT) | instid1(SALU_CYCLE_3)
	s_fmac_f32 s26, s23, s11
	s_add_f32 s11, s24, s26
	s_delay_alu instid0(SALU_CYCLE_3) | instskip(SKIP_1) | instid1(SALU_CYCLE_3)
	v_dual_mov_b32 v6, s26 :: v_dual_mov_b32 v7, s11
	s_sub_f32 s14, s22, s11
	v_dual_mov_b32 v2, s11 :: v_dual_mov_b32 v5, s14
	s_delay_alu instid0(VALU_DEP_1) | instskip(NEXT) | instid1(VALU_DEP_1)
	v_pk_add_f32 v[2:3], v[2:3], v[4:5] neg_lo:[0,1] neg_hi:[0,1]
	v_pk_add_f32 v[2:3], v[2:3], v[6:7] neg_lo:[0,1] neg_hi:[0,1]
	s_delay_alu instid0(VALU_DEP_1) | instskip(NEXT) | instid1(VALU_DEP_2)
	v_readfirstlane_b32 s11, v3
	v_readfirstlane_b32 s22, v2
	s_add_f32 s11, s22, s11
	s_delay_alu instid0(SALU_CYCLE_3) | instskip(NEXT) | instid1(SALU_CYCLE_3)
	s_add_f32 s11, s14, s11
	s_mul_f32 s11, s15, s11
	s_delay_alu instid0(SALU_CYCLE_3) | instskip(NEXT) | instid1(SALU_CYCLE_3)
	s_add_f32 s14, s23, s11
	s_sub_f32 s15, s14, s23
	s_mul_f32 s23, s14, s14
	s_delay_alu instid0(SALU_CYCLE_2) | instskip(NEXT) | instid1(SALU_CYCLE_2)
	s_sub_f32 s24, s11, s15
	s_xor_b32 s15, s23, 0x80000000
	s_delay_alu instid0(SALU_CYCLE_1) | instskip(NEXT) | instid1(SALU_CYCLE_1)
	s_fmac_f32 s15, s14, s14
	s_add_f32 s11, s24, s24
	s_delay_alu instid0(SALU_CYCLE_3) | instskip(SKIP_1) | instid1(SALU_CYCLE_2)
	s_fmac_f32 s15, s14, s11
	s_mov_b32 s11, 0x3e76c4e1
	s_add_f32 s22, s23, s15
	s_delay_alu instid0(SALU_CYCLE_3) | instskip(SKIP_1) | instid1(SALU_CYCLE_2)
	s_fmaak_f32 s25, s22, s11, 0x3e91f4c4
	s_sub_f32 s23, s22, s23
	s_fmaak_f32 s25, s22, s25, 0x3ecccdef
	s_delay_alu instid0(SALU_CYCLE_2) | instskip(NEXT) | instid1(SALU_CYCLE_2)
	s_sub_f32 s28, s15, s23
	s_mul_f32 s26, s22, s25
	s_delay_alu instid0(SALU_CYCLE_3) | instskip(NEXT) | instid1(SALU_CYCLE_1)
	s_xor_b32 s27, s26, 0x80000000
	s_fmac_f32 s27, s22, s25
	s_delay_alu instid0(SALU_CYCLE_3) | instskip(NEXT) | instid1(SALU_CYCLE_3)
	s_fmac_f32 s27, s28, s25
	s_add_f32 s23, s26, s27
	s_delay_alu instid0(SALU_CYCLE_3) | instskip(SKIP_1) | instid1(SALU_CYCLE_2)
	s_sub_f32 s15, s23, s26
	s_add_f32 s25, s23, 0x3f2aaaaa
	s_sub_f32 s15, s27, s15
	s_delay_alu instid0(SALU_CYCLE_2) | instskip(SKIP_1) | instid1(SALU_CYCLE_1)
	s_add_f32 s26, s25, 0xbf2aaaaa
	s_mov_b32 s27, 0
	s_add_f32 s15, s15, 0x31739010
	s_delay_alu instid0(SALU_CYCLE_1) | instskip(NEXT) | instid1(SALU_CYCLE_2)
	s_sub_f32 s23, s23, s26
	v_mov_b64_e32 v[2:3], s[14:15]
	s_delay_alu instid0(SALU_CYCLE_2) | instskip(NEXT) | instid1(VALU_DEP_1)
	v_mov_b64_e32 v[4:5], s[22:23]
	v_pk_mul_f32 v[6:7], v[2:3], v[4:5]
	v_pk_add_f32 v[2:3], v[2:3], v[4:5]
	v_mov_b32_e32 v9, s25
	s_delay_alu instid0(VALU_DEP_3) | instskip(NEXT) | instid1(VALU_DEP_3)
	v_xor_b32_e32 v8, 0x80000000, v6
	v_mov_b32_e32 v7, v3
	s_delay_alu instid0(VALU_DEP_2) | instskip(NEXT) | instid1(VALU_DEP_1)
	v_fmac_f32_e64 v8, s22, s14
	v_fmac_f32_e64 v8, s22, s24
	s_delay_alu instid0(VALU_DEP_1) | instskip(NEXT) | instid1(VALU_DEP_1)
	v_fmac_f32_e64 v8, s28, s14
	v_pk_add_f32 v[4:5], v[6:7], v[8:9]
	s_delay_alu instid0(VALU_DEP_1) | instskip(NEXT) | instid1(VALU_DEP_2)
	v_dual_mul_f32 v12, 0x3f317218, v1 :: v_dual_sub_f32 v9, v4, v6
	v_dual_mov_b32 v2, v5 :: v_dual_sub_f32 v7, s25, v5
	s_delay_alu instid0(VALU_DEP_2) | instskip(NEXT) | instid1(VALU_DEP_2)
	v_xor_b32_e32 v6, 0x80000000, v12
	v_pk_mul_f32 v[10:11], v[4:5], v[2:3]
	s_delay_alu instid0(VALU_DEP_2) | instskip(NEXT) | instid1(VALU_DEP_2)
	v_fmac_f32_e32 v6, 0x3f317218, v1
	v_xor_b32_e32 v2, 0x80000000, v10
	v_dual_add_f32 v3, v3, v7 :: v_dual_sub_f32 v7, v8, v9
	s_delay_alu instid0(VALU_DEP_2) | instskip(NEXT) | instid1(VALU_DEP_1)
	v_fmac_f32_e32 v2, v4, v5
	v_fmac_f32_e32 v2, v4, v3
	s_delay_alu instid0(VALU_DEP_1) | instskip(SKIP_1) | instid1(VALU_DEP_2)
	v_fmac_f32_e32 v2, v7, v5
	v_ldexp_f32 v7, s14, 1
	v_dual_add_f32 v13, v10, v2 :: v_dual_fmac_f32 v6, 0xb102e308, v1
	s_delay_alu instid0(VALU_DEP_2) | instskip(SKIP_1) | instid1(VALU_DEP_3)
	v_mov_b32_e32 v11, v7
	v_ldexp_f32 v1, s24, 1
	v_mov_b32_e32 v3, v13
	s_delay_alu instid0(VALU_DEP_4) | instskip(NEXT) | instid1(VALU_DEP_1)
	v_pk_add_f32 v[4:5], v[12:13], v[6:7]
	v_dual_mov_b32 v8, v13 :: v_dual_mov_b32 v9, v5
	s_delay_alu instid0(VALU_DEP_2) | instskip(NEXT) | instid1(VALU_DEP_2)
	v_dual_mov_b32 v7, v4 :: v_dual_mov_b32 v14, v5
	v_pk_add_f32 v[8:9], v[8:9], v[10:11] neg_lo:[0,1] neg_hi:[0,1]
	s_delay_alu instid0(VALU_DEP_1) | instskip(NEXT) | instid1(VALU_DEP_1)
	v_pk_add_f32 v[2:3], v[2:3], v[8:9] neg_lo:[0,1] neg_hi:[0,1]
	v_add_f32_e32 v1, v1, v2
	s_delay_alu instid0(VALU_DEP_1) | instskip(NEXT) | instid1(VALU_DEP_1)
	v_add_f32_e32 v13, v1, v3
	v_pk_add_f32 v[2:3], v[4:5], v[12:13]
	v_pk_add_f32 v[8:9], v[4:5], v[12:13] neg_lo:[0,1] neg_hi:[0,1]
	s_delay_alu instid0(VALU_DEP_2) | instskip(NEXT) | instid1(VALU_DEP_1)
	v_mov_b32_e32 v9, v3
	v_pk_add_f32 v[10:11], v[6:7], v[8:9]
	v_pk_add_f32 v[6:7], v[6:7], v[8:9] neg_lo:[0,1] neg_hi:[0,1]
	s_delay_alu instid0(VALU_DEP_2) | instskip(SKIP_1) | instid1(VALU_DEP_3)
	v_dual_mov_b32 v16, v3 :: v_dual_mov_b32 v17, v11
	v_mov_b32_e32 v12, v11
	v_readfirstlane_b32 s14, v6
	s_delay_alu instid0(VALU_DEP_2) | instskip(SKIP_1) | instid1(VALU_DEP_2)
	v_pk_add_f32 v[8:9], v[12:13], v[4:5] neg_lo:[0,1] neg_hi:[0,1]
	v_dual_mov_b32 v5, v4 :: v_dual_mov_b32 v4, v13
	v_dual_mov_b32 v10, s14 :: v_dual_mov_b32 v15, v8
	v_mov_b32_e32 v1, v8
	s_delay_alu instid0(VALU_DEP_2) | instskip(NEXT) | instid1(VALU_DEP_2)
	v_pk_add_f32 v[6:7], v[16:17], v[14:15] neg_lo:[0,1] neg_hi:[0,1]
	v_pk_add_f32 v[2:3], v[2:3], v[0:1] neg_lo:[0,1] neg_hi:[0,1]
	v_mov_b32_e32 v2, s14
	s_delay_alu instid0(VALU_DEP_3) | instskip(NEXT) | instid1(VALU_DEP_1)
	v_pk_add_f32 v[4:5], v[4:5], v[6:7] neg_lo:[0,1] neg_hi:[0,1]
	v_pk_add_f32 v[2:3], v[2:3], v[4:5]
	s_delay_alu instid0(VALU_DEP_1) | instskip(NEXT) | instid1(VALU_DEP_2)
	v_readfirstlane_b32 s15, v2
	v_mov_b32_e32 v6, v3
	s_delay_alu instid0(VALU_DEP_1) | instskip(NEXT) | instid1(VALU_DEP_3)
	v_pk_add_f32 v[6:7], v[2:3], v[6:7]
	v_mov_b32_e32 v2, s15
	s_delay_alu instid0(VALU_DEP_2) | instskip(SKIP_1) | instid1(VALU_DEP_2)
	v_pk_add_f32 v[8:9], v[12:13], v[6:7]
	v_mov_b32_e32 v5, v6
	v_readfirstlane_b32 s22, v8
	s_delay_alu instid0(VALU_DEP_1) | instskip(NEXT) | instid1(VALU_DEP_1)
	v_mov_b32_e32 v3, s22
	v_pk_add_f32 v[2:3], v[2:3], v[10:11] neg_lo:[0,1] neg_hi:[0,1]
	s_delay_alu instid0(VALU_DEP_1) | instskip(NEXT) | instid1(VALU_DEP_2)
	v_readfirstlane_b32 s23, v2
	v_pk_add_f32 v[2:3], v[4:5], v[2:3] neg_lo:[0,1] neg_hi:[0,1]
	s_sub_f32 s15, s15, s23
	s_delay_alu instid0(VALU_DEP_1) | instskip(NEXT) | instid1(SALU_CYCLE_2)
	v_readfirstlane_b32 s23, v2
	s_sub_f32 s14, s14, s15
	v_readfirstlane_b32 s15, v3
	s_delay_alu instid0(SALU_CYCLE_2) | instskip(NEXT) | instid1(SALU_CYCLE_3)
	s_add_f32 s14, s23, s14
	s_add_f32 s14, s14, s15
	s_delay_alu instid0(SALU_CYCLE_3) | instskip(NEXT) | instid1(SALU_CYCLE_3)
	s_add_f32 s15, s22, s14
	s_mul_f32 s23, s4, s15
	s_sub_f32 s22, s15, s22
	s_delay_alu instid0(SALU_CYCLE_2) | instskip(NEXT) | instid1(SALU_CYCLE_2)
	s_xor_b32 s24, s23, 0x80000000
	s_sub_f32 s14, s14, s22
	s_fmac_f32 s24, s4, s15
	s_delay_alu instid0(SALU_CYCLE_3) | instskip(SKIP_1) | instid1(SALU_CYCLE_2)
	s_fmac_f32 s24, s4, s14
	v_cmp_class_f32_e64 s14, s23, 0x204
	s_add_f32 s15, s23, s24
	s_and_b32 s14, s14, exec_lo
	s_delay_alu instid0(SALU_CYCLE_2) | instskip(SKIP_1) | instid1(SALU_CYCLE_1)
	s_sub_f32 s14, s15, s23
	s_cselect_b32 s15, s23, s15
	s_and_b32 s22, s15, 0x7fffffff
	s_delay_alu instid0(SALU_CYCLE_1) | instskip(SKIP_1) | instid1(SALU_CYCLE_2)
	s_sub_f32 s14, s24, s14
	s_cmp_neq_f32 s22, 0x7f800000
	s_cselect_b32 s14, s14, 0
	s_cmp_eq_f32 s15, 0x42b17218
	s_cselect_b32 s22, 0x37000000, 0
	s_delay_alu instid0(SALU_CYCLE_1) | instskip(SKIP_1) | instid1(SALU_CYCLE_2)
	s_sub_f32 s15, s15, s22
	s_add_f32 s14, s22, s14
	s_mul_f32 s23, s15, 0x3fb8aa3b
	s_delay_alu instid0(SALU_CYCLE_3) | instskip(SKIP_3) | instid1(SALU_CYCLE_1)
	s_xor_b32 s24, s23, 0x80000000
	s_rndne_f32 s25, s23
	s_fmamk_f32 s24, s15, 0x3fb8aa3b, s24
	s_cmp_nlt_f32 s15, 0xc2ce8ed0
	s_sub_f32 s23, s23, s25
	s_delay_alu instid0(SALU_CYCLE_1)
	s_fmamk_f32 s24, s15, 0x32a5705f, s24
	s_cselect_b32 vcc_lo, -1, 0
	s_cmp_ngt_f32 s15, 0x42b17218
	s_trunc_f32 s15, s4
	s_add_f32 s23, s23, s24
	s_cvt_i32_f32 s24, s25
	s_delay_alu instid0(SALU_CYCLE_2)
	v_s_exp_f32 s23, s23
	v_nop
	s_delay_alu instid0(TRANS32_DEP_1) | instid1(SALU_CYCLE_1)
	v_ldexp_f32 v1, s23, s24
	s_mul_f32 s23, s4, 0.5
	s_delay_alu instid0(VALU_DEP_1) | instskip(SKIP_3) | instid1(VALU_DEP_1)
	v_cndmask_b32_e32 v1, 0, v1, vcc_lo
	s_cselect_b32 vcc_lo, -1, 0
	s_cmp_eq_f32 s15, s4
	s_trunc_f32 s24, s23
	v_cndmask_b32_e32 v1, 0x7f800000, v1, vcc_lo
	s_cselect_b32 s22, -1, 0
	s_delay_alu instid0(SALU_CYCLE_1) | instskip(NEXT) | instid1(VALU_DEP_1)
	s_cmp_neq_f32 s24, s23
	v_fma_f32 v2, s14, v1, v1
	v_cmp_class_f32_e64 vcc_lo, v1, 0x204
	s_cselect_b32 s14, -1, 0
	s_delay_alu instid0(SALU_CYCLE_1) | instskip(SKIP_4) | instid1(VALU_DEP_1)
	s_and_b32 s14, s22, s14
	v_cndmask_b32_e32 v1, v2, v1, vcc_lo
	s_and_b32 s22, s14, exec_lo
	s_cselect_b32 s22, s5, 1.0
	s_cmp_eq_f32 s15, s4
	v_bfi_b32 v1, 0x7fffffff, v1, s22
	s_cselect_b32 s22, -1, 0
	s_delay_alu instid0(SALU_CYCLE_1) | instskip(NEXT) | instid1(VALU_DEP_1)
	s_and_b32 s22, s22, exec_lo
	v_readfirstlane_b32 s15, v1
	s_cselect_b32 s22, s15, 0x7fc00000
	s_and_b32 s23, s5, 0x7fffffff
	s_cmp_lt_f32 s5, 0
	s_cselect_b32 s15, s22, s15
	s_and_b32 s22, s4, 0x7fffffff
	s_delay_alu instid0(SALU_CYCLE_1) | instskip(SKIP_3) | instid1(SALU_CYCLE_1)
	s_cmp_neq_f32 s4, s22
	s_cselect_b32 s22, -1, 0
	s_cmp_lt_f32 s23, 1.0
	s_cselect_b32 s24, -1, 0
	s_xor_b32 s22, s22, s24
	v_cmp_class_f32_e64 s24, s4, 0x204
	s_and_b32 s22, s22, exec_lo
	s_cselect_b32 s22, 0, 0x7f800000
	s_cmp_neq_f32 s23, 1.0
	s_cselect_b32 s22, s22, 1.0
	s_and_b32 s23, s24, exec_lo
	s_cselect_b32 s15, s22, s15
	s_cmp_eq_f32 s5, 0
	v_cmp_class_f32_e64 s22, s5, 0x204
	s_cselect_b32 s23, -1, 0
	s_delay_alu instid0(SALU_CYCLE_1) | instskip(SKIP_2) | instid1(SALU_CYCLE_1)
	s_or_b32 s22, s23, s22
	s_cmp_lt_f32 s4, 0
	s_cselect_b32 s24, -1, 0
	s_xor_b32 s23, s24, s23
	s_delay_alu instid0(SALU_CYCLE_1)
	s_and_b32 s23, s23, exec_lo
	s_cselect_b32 s23, 0, 0x7f800000
	s_and_b32 s14, s14, exec_lo
	s_cselect_b32 s14, s5, 0
	s_and_b32 s22, s22, exec_lo
	v_mov_b32_e32 v1, s14
	s_delay_alu instid0(VALU_DEP_1) | instskip(NEXT) | instid1(VALU_DEP_1)
	v_bfi_b32 v1, 0x7fffffff, s23, v1
	v_readfirstlane_b32 s14, v1
	s_cselect_b32 s14, s14, s15
	s_cmp_o_f32 s5, s4
	s_sub_f32 s4, 1.0, s14
	s_delay_alu instid0(SALU_CYCLE_3) | instskip(NEXT) | instid1(SALU_CYCLE_1)
	s_cselect_b32 s5, s4, 0x7fc00000
	s_mul_f32 s4, s5, 0x4f800000
	s_cmp_lt_f32 s5, 0xf800000
	s_delay_alu instid0(SALU_CYCLE_2) | instskip(NEXT) | instid1(SALU_CYCLE_1)
	s_cselect_b32 s4, s4, s5
	v_s_sqrt_f32 s8, s4
	s_mov_b32 s14, s4
	s_delay_alu instid0(TRANS32_DEP_1) | instskip(NEXT) | instid1(SALU_CYCLE_1)
	s_add_co_i32 s9, s8, -1
	s_xor_b32 s15, s9, 0x80000000
	s_delay_alu instid0(SALU_CYCLE_1) | instskip(SKIP_1) | instid1(SALU_CYCLE_2)
	s_fmac_f32 s14, s15, s8
	s_mov_b32 s15, s4
	s_cmp_le_f32 s14, 0
	s_cselect_b32 s9, s9, s8
	s_add_co_i32 s14, s8, 1
	s_delay_alu instid0(SALU_CYCLE_1) | instskip(NEXT) | instid1(SALU_CYCLE_1)
	s_xor_b32 s22, s14, 0x80000000
	s_fmac_f32 s15, s22, s8
	s_delay_alu instid0(SALU_CYCLE_3) | instskip(SKIP_4) | instid1(SALU_CYCLE_3)
	s_cmp_gt_f32 s15, 0
	v_readfirstlane_b32 s15, v38
	s_cselect_b32 s8, s14, s9
	s_cmp_lt_f32 s5, 0xf800000
	s_mul_f32 s5, s8, 0x37800000
	s_cselect_b32 s5, s5, s8
	s_cmp_neq_f32 s15, 1.0
	s_cselect_b32 s8, s10, 1.0
	s_delay_alu instid0(SALU_CYCLE_1) | instskip(SKIP_1) | instid1(SALU_CYCLE_1)
	s_cmp_neq_f32 s8, 0
	s_cselect_b32 s9, s15, 1.0
	v_cvt_f64_f32_e64 v[2:3], |s9|
	s_delay_alu instid0(VALU_DEP_1) | instskip(SKIP_1) | instid1(VALU_DEP_1)
	v_frexp_exp_i32_f64_e32 v1, v[2:3]
	v_frexp_mant_f32_e64 v2, |s9|
	v_readfirstlane_b32 s10, v2
	s_cmp_lt_f32 s10, 0x3f2aaaab
	s_cselect_b32 vcc_lo, -1, 0
	s_delay_alu instid0(SALU_CYCLE_1) | instskip(SKIP_1) | instid1(SALU_CYCLE_1)
	s_and_b32 s14, vcc_lo, exec_lo
	s_cselect_b32 s14, 2.0, 1.0
	s_mul_f32 s10, s10, s14
	s_delay_alu instid0(SALU_CYCLE_3) | instskip(SKIP_1) | instid1(SALU_CYCLE_2)
	s_add_f32 s14, s10, 1.0
	s_add_f32 s22, s10, -1.0
	v_s_rcp_f32 s15, s14
	s_add_f32 s25, s14, -1.0
	s_delay_alu instid0(SALU_CYCLE_1) | instskip(SKIP_1) | instid1(SALU_CYCLE_1)
	v_mov_b32_e32 v3, s22
	v_subrev_co_ci_u32_e64 v1, null, 0, v1, vcc_lo
	s_sub_f32 s10, s10, s25
	s_delay_alu instid0(TRANS32_DEP_1) | instskip(SKIP_1) | instid1(SALU_CYCLE_2)
	s_mul_f32 s23, s22, s15
	v_cvt_f32_i32_e32 v1, v1
	s_mul_f32 s24, s14, s23
	s_delay_alu instid0(SALU_CYCLE_3) | instskip(SKIP_2) | instid1(SALU_CYCLE_3)
	s_xor_b32 s26, s24, 0x80000000
	v_mov_b32_e32 v4, s24
	s_fmac_f32 s26, s23, s14
	s_fmac_f32 s26, s23, s10
	s_delay_alu instid0(SALU_CYCLE_3) | instskip(NEXT) | instid1(SALU_CYCLE_3)
	s_add_f32 s10, s24, s26
	v_dual_mov_b32 v6, s26 :: v_dual_mov_b32 v7, s10
	s_sub_f32 s14, s22, s10
	s_delay_alu instid0(SALU_CYCLE_3) | instskip(NEXT) | instid1(VALU_DEP_1)
	v_dual_mov_b32 v2, s10 :: v_dual_mov_b32 v5, s14
	v_pk_add_f32 v[2:3], v[2:3], v[4:5] neg_lo:[0,1] neg_hi:[0,1]
	s_delay_alu instid0(VALU_DEP_1) | instskip(NEXT) | instid1(VALU_DEP_1)
	v_pk_add_f32 v[2:3], v[2:3], v[6:7] neg_lo:[0,1] neg_hi:[0,1]
	v_readfirstlane_b32 s10, v3
	s_delay_alu instid0(VALU_DEP_2) | instskip(SKIP_1) | instid1(SALU_CYCLE_3)
	v_readfirstlane_b32 s22, v2
	s_add_f32 s10, s22, s10
	s_add_f32 s10, s14, s10
	s_delay_alu instid0(SALU_CYCLE_3) | instskip(NEXT) | instid1(SALU_CYCLE_3)
	s_mul_f32 s14, s15, s10
	s_add_f32 s10, s23, s14
	s_delay_alu instid0(SALU_CYCLE_3) | instskip(SKIP_1) | instid1(SALU_CYCLE_2)
	s_sub_f32 s15, s10, s23
	s_mul_f32 s22, s10, s10
	s_sub_f32 s23, s14, s15
	s_delay_alu instid0(SALU_CYCLE_2) | instskip(NEXT) | instid1(SALU_CYCLE_1)
	s_xor_b32 s15, s22, 0x80000000
	s_fmac_f32 s15, s10, s10
	s_delay_alu instid0(SALU_CYCLE_1) | instskip(NEXT) | instid1(SALU_CYCLE_3)
	s_add_f32 s14, s23, s23
	s_fmac_f32 s15, s10, s14
	s_delay_alu instid0(SALU_CYCLE_3) | instskip(NEXT) | instid1(SALU_CYCLE_3)
	s_add_f32 s14, s22, s15
	s_fmaak_f32 s11, s14, s11, 0x3e91f4c4
	s_sub_f32 s22, s14, s22
	s_delay_alu instid0(SALU_CYCLE_2) | instskip(NEXT) | instid1(SALU_CYCLE_2)
	s_fmaak_f32 s11, s14, s11, 0x3ecccdef
	s_sub_f32 s22, s15, s22
	s_delay_alu instid0(SALU_CYCLE_2) | instskip(NEXT) | instid1(SALU_CYCLE_3)
	s_mul_f32 s24, s14, s11
	s_xor_b32 s25, s24, 0x80000000
	s_delay_alu instid0(SALU_CYCLE_1) | instskip(NEXT) | instid1(SALU_CYCLE_3)
	s_fmac_f32 s25, s14, s11
	s_fmac_f32 s25, s22, s11
	s_delay_alu instid0(SALU_CYCLE_3) | instskip(NEXT) | instid1(SALU_CYCLE_3)
	s_add_f32 s15, s24, s25
	s_sub_f32 s11, s15, s24
	s_add_f32 s24, s15, 0x3f2aaaaa
	s_delay_alu instid0(SALU_CYCLE_2) | instskip(NEXT) | instid1(SALU_CYCLE_2)
	s_sub_f32 s11, s25, s11
	s_add_f32 s25, s24, 0xbf2aaaaa
	s_delay_alu instid0(SALU_CYCLE_2) | instskip(NEXT) | instid1(SALU_CYCLE_2)
	s_add_f32 s11, s11, 0x31739010
	s_sub_f32 s15, s15, s25
	s_delay_alu instid0(SALU_CYCLE_2) | instskip(NEXT) | instid1(SALU_CYCLE_2)
	v_mov_b64_e32 v[2:3], s[10:11]
	v_mov_b64_e32 v[4:5], s[14:15]
	s_delay_alu instid0(VALU_DEP_1) | instskip(SKIP_2) | instid1(VALU_DEP_3)
	v_pk_mul_f32 v[6:7], v[2:3], v[4:5]
	v_pk_add_f32 v[2:3], v[2:3], v[4:5]
	v_mov_b32_e32 v9, s24
	v_xor_b32_e32 v8, 0x80000000, v6
	s_delay_alu instid0(VALU_DEP_3) | instskip(NEXT) | instid1(VALU_DEP_2)
	v_mov_b32_e32 v7, v3
	v_fmac_f32_e64 v8, s14, s10
	s_delay_alu instid0(VALU_DEP_1) | instskip(NEXT) | instid1(VALU_DEP_1)
	v_fmac_f32_e64 v8, s14, s23
	v_fmac_f32_e64 v8, s22, s10
	s_delay_alu instid0(VALU_DEP_1) | instskip(NEXT) | instid1(VALU_DEP_1)
	v_pk_add_f32 v[4:5], v[6:7], v[8:9]
	v_dual_mov_b32 v2, v5 :: v_dual_sub_f32 v7, s24, v5
	s_delay_alu instid0(VALU_DEP_2) | instskip(NEXT) | instid1(VALU_DEP_2)
	v_dual_sub_f32 v9, v4, v6 :: v_dual_mul_f32 v12, 0x3f317218, v1
	v_pk_mul_f32 v[10:11], v[4:5], v[2:3]
	s_delay_alu instid0(VALU_DEP_2) | instskip(NEXT) | instid1(VALU_DEP_3)
	v_dual_add_f32 v3, v3, v7 :: v_dual_sub_f32 v7, v8, v9
	v_xor_b32_e32 v6, 0x80000000, v12
	s_delay_alu instid0(VALU_DEP_3) | instskip(NEXT) | instid1(VALU_DEP_2)
	v_xor_b32_e32 v2, 0x80000000, v10
	v_fmac_f32_e32 v6, 0x3f317218, v1
	s_delay_alu instid0(VALU_DEP_2) | instskip(NEXT) | instid1(VALU_DEP_2)
	v_fmac_f32_e32 v2, v4, v5
	v_fmac_f32_e32 v6, 0xb102e308, v1
	v_ldexp_f32 v1, s23, 1
	s_delay_alu instid0(VALU_DEP_3) | instskip(NEXT) | instid1(VALU_DEP_1)
	v_fmac_f32_e32 v2, v4, v3
	v_fmac_f32_e32 v2, v7, v5
	v_ldexp_f32 v7, s10, 1
	s_delay_alu instid0(VALU_DEP_1) | instskip(NEXT) | instid1(VALU_DEP_1)
	v_dual_add_f32 v13, v10, v2 :: v_dual_mov_b32 v11, v7
	v_pk_add_f32 v[4:5], v[12:13], v[6:7]
	v_dual_mov_b32 v8, v13 :: v_dual_mov_b32 v3, v13
	s_delay_alu instid0(VALU_DEP_2) | instskip(NEXT) | instid1(VALU_DEP_1)
	v_dual_mov_b32 v9, v5 :: v_dual_mov_b32 v7, v4
	v_pk_add_f32 v[8:9], v[8:9], v[10:11] neg_lo:[0,1] neg_hi:[0,1]
	s_delay_alu instid0(VALU_DEP_1) | instskip(NEXT) | instid1(VALU_DEP_1)
	v_pk_add_f32 v[2:3], v[2:3], v[8:9] neg_lo:[0,1] neg_hi:[0,1]
	v_add_f32_e32 v1, v1, v2
	s_delay_alu instid0(VALU_DEP_1) | instskip(NEXT) | instid1(VALU_DEP_1)
	v_add_f32_e32 v13, v1, v3
	v_pk_add_f32 v[2:3], v[4:5], v[12:13]
	v_pk_add_f32 v[8:9], v[4:5], v[12:13] neg_lo:[0,1] neg_hi:[0,1]
	s_delay_alu instid0(VALU_DEP_2) | instskip(SKIP_1) | instid1(VALU_DEP_1)
	v_dual_mov_b32 v14, v5 :: v_dual_mov_b32 v16, v3
	v_mov_b32_e32 v9, v3
	v_pk_add_f32 v[10:11], v[6:7], v[8:9]
	s_delay_alu instid0(VALU_DEP_1) | instskip(SKIP_1) | instid1(VALU_DEP_2)
	v_mov_b32_e32 v12, v11
	v_pk_add_f32 v[6:7], v[6:7], v[8:9] neg_lo:[0,1] neg_hi:[0,1]
	v_pk_add_f32 v[8:9], v[12:13], v[4:5] neg_lo:[0,1] neg_hi:[0,1]
	v_mov_b32_e32 v17, v11
	s_delay_alu instid0(VALU_DEP_3) | instskip(SKIP_1) | instid1(VALU_DEP_4)
	v_readfirstlane_b32 s10, v6
	v_dual_mov_b32 v5, v4 :: v_dual_mov_b32 v4, v13
	v_dual_mov_b32 v15, v8 :: v_dual_mov_b32 v1, v8
	s_delay_alu instid0(VALU_DEP_3) | instskip(NEXT) | instid1(VALU_DEP_2)
	v_mov_b32_e32 v10, s10
	v_pk_add_f32 v[6:7], v[16:17], v[14:15] neg_lo:[0,1] neg_hi:[0,1]
	s_delay_alu instid0(VALU_DEP_3) | instskip(SKIP_1) | instid1(VALU_DEP_3)
	v_pk_add_f32 v[2:3], v[2:3], v[0:1] neg_lo:[0,1] neg_hi:[0,1]
	v_mov_b32_e32 v2, s10
	v_pk_add_f32 v[4:5], v[4:5], v[6:7] neg_lo:[0,1] neg_hi:[0,1]
	s_delay_alu instid0(VALU_DEP_1) | instskip(NEXT) | instid1(VALU_DEP_1)
	v_pk_add_f32 v[2:3], v[2:3], v[4:5]
	v_mov_b32_e32 v6, v3
	s_delay_alu instid0(VALU_DEP_2) | instskip(NEXT) | instid1(VALU_DEP_2)
	v_readfirstlane_b32 s11, v2
	v_pk_add_f32 v[6:7], v[2:3], v[6:7]
	s_delay_alu instid0(VALU_DEP_1) | instskip(SKIP_1) | instid1(VALU_DEP_2)
	v_pk_add_f32 v[8:9], v[12:13], v[6:7]
	v_mov_b32_e32 v5, v6
	v_readfirstlane_b32 s14, v8
	s_delay_alu instid0(VALU_DEP_1) | instskip(NEXT) | instid1(VALU_DEP_1)
	v_dual_mov_b32 v2, s11 :: v_dual_mov_b32 v3, s14
	v_pk_add_f32 v[2:3], v[2:3], v[10:11] neg_lo:[0,1] neg_hi:[0,1]
	s_delay_alu instid0(VALU_DEP_1) | instskip(NEXT) | instid1(VALU_DEP_2)
	v_readfirstlane_b32 s15, v2
	v_pk_add_f32 v[2:3], v[4:5], v[2:3] neg_lo:[0,1] neg_hi:[0,1]
	s_sub_f32 s11, s11, s15
	s_delay_alu instid0(VALU_DEP_1) | instskip(NEXT) | instid1(SALU_CYCLE_2)
	v_readfirstlane_b32 s15, v2
	s_sub_f32 s10, s10, s11
	v_readfirstlane_b32 s11, v3
	s_delay_alu instid0(SALU_CYCLE_2) | instskip(NEXT) | instid1(SALU_CYCLE_3)
	s_add_f32 s10, s15, s10
	s_add_f32 s10, s10, s11
	s_delay_alu instid0(SALU_CYCLE_3) | instskip(NEXT) | instid1(SALU_CYCLE_3)
	s_add_f32 s11, s14, s10
	s_mul_f32 s15, s8, s11
	s_sub_f32 s14, s11, s14
	s_delay_alu instid0(SALU_CYCLE_2) | instskip(NEXT) | instid1(SALU_CYCLE_2)
	s_xor_b32 s22, s15, 0x80000000
	s_sub_f32 s10, s10, s14
	s_fmac_f32 s22, s8, s11
	s_delay_alu instid0(SALU_CYCLE_3) | instskip(SKIP_1) | instid1(SALU_CYCLE_2)
	s_fmac_f32 s22, s8, s10
	v_cmp_class_f32_e64 s10, s15, 0x204
	s_add_f32 s11, s15, s22
	s_and_b32 s10, s10, exec_lo
	s_delay_alu instid0(SALU_CYCLE_2) | instskip(SKIP_1) | instid1(SALU_CYCLE_1)
	s_sub_f32 s10, s11, s15
	s_cselect_b32 s11, s15, s11
	s_and_b32 s14, s11, 0x7fffffff
	s_delay_alu instid0(SALU_CYCLE_1) | instskip(SKIP_1) | instid1(SALU_CYCLE_2)
	s_sub_f32 s10, s22, s10
	s_cmp_neq_f32 s14, 0x7f800000
	s_cselect_b32 s10, s10, 0
	s_cmp_eq_f32 s11, 0x42b17218
	s_cselect_b32 s14, 0x37000000, 0
	s_delay_alu instid0(SALU_CYCLE_1) | instskip(SKIP_1) | instid1(SALU_CYCLE_2)
	s_sub_f32 s11, s11, s14
	s_add_f32 s10, s14, s10
	s_mul_f32 s15, s11, 0x3fb8aa3b
	s_delay_alu instid0(SALU_CYCLE_3) | instskip(SKIP_3) | instid1(SALU_CYCLE_1)
	s_xor_b32 s22, s15, 0x80000000
	s_rndne_f32 s23, s15
	s_fmamk_f32 s22, s11, 0x3fb8aa3b, s22
	s_cmp_nlt_f32 s11, 0xc2ce8ed0
	s_sub_f32 s15, s15, s23
	s_delay_alu instid0(SALU_CYCLE_1)
	s_fmamk_f32 s22, s11, 0x32a5705f, s22
	s_cselect_b32 vcc_lo, -1, 0
	s_cmp_ngt_f32 s11, 0x42b17218
	s_trunc_f32 s11, s8
	s_add_f32 s15, s15, s22
	s_cvt_i32_f32 s22, s23
	s_delay_alu instid0(SALU_CYCLE_2)
	v_s_exp_f32 s15, s15
	v_nop
	s_delay_alu instid0(TRANS32_DEP_1) | instid1(SALU_CYCLE_1)
	v_ldexp_f32 v1, s15, s22
	s_mul_f32 s15, s8, 0.5
	s_delay_alu instid0(VALU_DEP_1) | instskip(SKIP_3) | instid1(VALU_DEP_1)
	v_cndmask_b32_e32 v1, 0, v1, vcc_lo
	s_cselect_b32 vcc_lo, -1, 0
	s_cmp_eq_f32 s11, s8
	s_trunc_f32 s22, s15
	v_cndmask_b32_e32 v1, 0x7f800000, v1, vcc_lo
	s_cselect_b32 s23, -1, 0
	s_delay_alu instid0(SALU_CYCLE_1) | instskip(NEXT) | instid1(VALU_DEP_1)
	s_cmp_neq_f32 s22, s15
	v_fma_f32 v2, s10, v1, v1
	s_cselect_b32 s14, -1, 0
	v_cmp_class_f32_e64 vcc_lo, v1, 0x204
	s_and_b32 s14, s23, s14
	s_delay_alu instid0(SALU_CYCLE_1)
	s_and_b32 s10, s14, exec_lo
	s_cselect_b32 s10, s9, 1.0
	s_cmp_eq_f32 s11, s8
	v_cndmask_b32_e32 v1, v2, v1, vcc_lo
	s_cselect_b32 vcc_lo, -1, 0
	s_bitcmp1_b32 s7, 0
	s_delay_alu instid0(VALU_DEP_1) | instskip(SKIP_3) | instid1(VALU_DEP_1)
	v_bfi_b32 v1, 0x7fffffff, v1, s10
	s_cselect_b32 s30, -1, 0
	s_and_b32 s7, s9, 0x7fffffff
	s_cmp_lt_f32 s9, 0
	v_cndmask_b32_e32 v2, 0x7fc00000, v1, vcc_lo
	s_cselect_b32 vcc_lo, -1, 0
	s_and_b32 s10, s8, 0x7fffffff
	s_delay_alu instid0(SALU_CYCLE_1) | instskip(NEXT) | instid1(VALU_DEP_1)
	s_cmp_neq_f32 s8, s10
	v_cndmask_b32_e32 v1, v1, v2, vcc_lo
	s_cselect_b32 s10, -1, 0
	s_cmp_lt_f32 s7, 1.0
	s_cselect_b32 s11, -1, 0
	s_delay_alu instid0(SALU_CYCLE_1)
	s_xor_b32 s10, s10, s11
	v_cmp_class_f32_e64 s11, s8, 0x204
	s_and_b32 s10, s10, exec_lo
	s_cselect_b32 s10, 0, 0x7f800000
	s_cmp_neq_f32 s7, 1.0
	s_cselect_b32 s7, s10, 1.0
	s_cmp_eq_f32 s9, 0
	v_cmp_class_f32_e64 s10, s9, 0x204
	v_cndmask_b32_e64 v1, v1, s7, s11
	s_cselect_b32 s15, -1, 0
	s_delay_alu instid0(SALU_CYCLE_1)
	s_or_b32 vcc_lo, s15, s10
	s_cmp_lt_f32 s8, 0
	s_add_nc_u64 s[10:11], s[0:1], s[2:3]
	s_mul_u64 s[2:3], s[2:3], 3
	s_cselect_b32 s7, -1, 0
	s_add_nc_u64 s[2:3], s[10:11], s[2:3]
	s_xor_b32 s7, s7, s15
	s_load_b32 s2, s[2:3], 0x800
	s_and_b32 s7, s7, exec_lo
	s_cselect_b32 s7, 0, 0x7f800000
	s_and_b32 s14, s14, exec_lo
	s_cselect_b32 s14, s9, 0
	s_wait_xcnt 0x0
	v_cmp_class_f32_e64 s3, s4, 0x260
	v_mov_b32_e32 v2, s14
	s_clause 0x3
	s_load_b64 s[10:11], s[0:1], s6 offset:0x0 scale_offset
	s_load_b64 s[14:15], s[0:1], s6 offset:0x120 scale_offset
	;; [unrolled: 1-line block ×4, first 2 shown]
	s_cmp_o_f32 s9, s8
	v_bfi_b32 v2, 0x7fffffff, s7, v2
	s_delay_alu instid0(VALU_DEP_1)
	v_cndmask_b32_e32 v1, v1, v2, vcc_lo
	s_cselect_b32 vcc_lo, -1, 0
	s_and_b32 s3, s3, exec_lo
	s_cselect_b32 s31, s4, s5
	s_wait_kmcnt 0x0
	s_ashr_i32 s3, s2, 31
	v_sub_f32_e32 v1, 1.0, v1
	s_lshl_b64 s[4:5], s[2:3], 18
	s_lshl_b64 s[16:17], s[2:3], 16
	s_add_nc_u64 s[6:7], s[10:11], s[4:5]
	s_add_nc_u64 s[8:9], s[14:15], s[4:5]
	s_and_b64 s[2:3], s[6:7], 15
	s_and_b32 s26, s8, 15
	s_add_nc_u64 s[10:11], s[22:23], s[4:5]
	s_cmp_lg_u64 s[26:27], 0
	s_add_nc_u64 s[14:15], s[24:25], s[4:5]
	s_cselect_b32 s18, -1, 0
	s_or_b32 s4, s14, s10
	v_cndmask_b32_e32 v41, 0x7fc00000, v1, vcc_lo
	s_and_b32 s4, s4, 15
	s_sub_nc_u64 s[16:17], s[20:21], s[16:17]
	s_cmp_lg_u32 s4, 0
	s_cselect_b32 s19, -1, 0
	s_and_b64 s[4:5], s[20:21], 3
	s_delay_alu instid0(SALU_CYCLE_1) | instskip(SKIP_3) | instid1(SALU_CYCLE_1)
	s_or_b64 s[2:3], s[2:3], s[4:5]
	s_or_b32 s4, s19, s18
	s_cmp_lg_u64 s[2:3], 0
	s_cselect_b32 s2, -1, 0
	s_or_b32 s3, s4, s2
	s_mov_b32 s2, -1
	s_and_not1_b32 vcc_lo, exec_lo, s3
	s_cbranch_vccz .LBB2_22
; %bb.7:
	v_min_i64 v[22:23], 0x10000, s[16:17]
	v_dual_mov_b32 v25, 0 :: v_dual_lshlrev_b32 v24, 2, v0
	s_mov_b32 s33, exec_lo
	s_delay_alu instid0(VALU_DEP_1)
	v_cmpx_lt_i64_e64 v[24:25], v[22:23]
	s_cbranch_execz .LBB2_21
; %bb.8:
	v_div_scale_f32 v1, null, v41, v41, v37
	v_div_scale_f32 v4, vcc_lo, v37, v41, v37
	s_load_b32 s3, s[0:1], 0xd64
	v_rcp_f32_e32 v2, v1
	v_xor_b32_e32 v3, 0x80000000, v1
	s_cmp_lg_u64 s[12:13], 0
	v_cmp_neq_f32_e64 s2, 0, v40
	s_mov_b32 s19, 0
	s_cselect_b32 s34, -1, 0
	s_mov_b64 s[20:21], s[8:9]
	v_fma_f32 v1, v3, v2, 1.0
	s_mov_b32 s23, s19
	s_mov_b32 s35, s19
	s_mov_b64 s[24:25], s[10:11]
	s_mov_b64 s[26:27], s[6:7]
	v_fmac_f32_e32 v2, v1, v2
	s_mov_b64 s[28:29], s[14:15]
	v_mov_b32_e32 v1, v25
	s_delay_alu instid0(VALU_DEP_2) | instskip(NEXT) | instid1(VALU_DEP_2)
	v_dual_mul_f32 v42, v37, v40 :: v_dual_mul_f32 v5, v4, v2
	v_mov_b64_e32 v[26:27], v[0:1]
	s_wait_kmcnt 0x0
	s_and_b32 s18, s3, 0xffff
	s_delay_alu instid0(VALU_DEP_2) | instskip(SKIP_1) | instid1(VALU_DEP_1)
	v_fma_f32 v6, v3, v5, v4
	s_lshl_b32 s22, s18, 4
	v_dual_fmac_f32 v5, v6, v2 :: v_dual_lshlrev_b32 v24, 4, v0
	s_delay_alu instid0(VALU_DEP_1) | instskip(NEXT) | instid1(VALU_DEP_1)
	v_fmac_f32_e32 v4, v3, v5
	v_div_fmas_f32 v2, v4, v2, v5
	s_delay_alu instid0(VALU_DEP_1)
	v_div_fixup_f32 v43, v2, v41, v37
	s_branch .LBB2_10
.LBB2_9:                                ;   in Loop: Header=BB2_10 Depth=1
	v_add_nc_u64_e32 v[26:27], s[18:19], v[26:27]
	s_add_nc_u64 s[28:29], s[28:29], s[22:23]
	s_add_nc_u64 s[26:27], s[26:27], s[22:23]
	;; [unrolled: 1-line block ×4, first 2 shown]
	global_store_b128 v[30:31], v[18:21], off
	global_store_b128 v[28:29], v[14:17], off
	s_wait_xcnt 0x2
	v_lshlrev_b64_e32 v[2:3], 2, v[26:27]
	s_delay_alu instid0(VALU_DEP_1)
	v_cmp_ge_i64_e32 vcc_lo, v[2:3], v[22:23]
	s_or_b32 s35, vcc_lo, s35
	s_wait_xcnt 0x0
	s_and_not1_b32 exec_lo, exec_lo, s35
	s_cbranch_execz .LBB2_21
.LBB2_10:                               ; =>This Inner Loop Header: Depth=1
	v_add_nc_u64_e32 v[34:35], s[26:27], v[24:25]
	v_add_nc_u64_e32 v[32:33], s[20:21], v[24:25]
	;; [unrolled: 1-line block ×4, first 2 shown]
	s_and_not1_b32 vcc_lo, exec_lo, s34
	global_load_b128 v[6:9], v[34:35], off
	global_load_b128 v[2:5], v[32:33], off
	;; [unrolled: 1-line block ×4, first 2 shown]
	s_cbranch_vccnz .LBB2_12
; %bb.11:                               ;   in Loop: Header=BB2_10 Depth=1
	global_load_b32 v1, v25, s[12:13]
	s_wait_loadcnt 0x0
	v_div_scale_f32 v14, null, v1, v1, v2
	s_delay_alu instid0(VALU_DEP_1) | instskip(SKIP_1) | instid1(TRANS32_DEP_1)
	v_rcp_f32_e32 v15, v14
	v_nop
	v_fma_f32 v16, -v14, v15, 1.0
	s_delay_alu instid0(VALU_DEP_1) | instskip(SKIP_1) | instid1(VALU_DEP_1)
	v_fmac_f32_e32 v15, v16, v15
	v_div_scale_f32 v16, vcc_lo, v2, v1, v2
	v_mul_f32_e32 v17, v16, v15
	s_delay_alu instid0(VALU_DEP_1) | instskip(NEXT) | instid1(VALU_DEP_1)
	v_fma_f32 v44, -v14, v17, v16
	v_fmac_f32_e32 v17, v44, v15
	s_delay_alu instid0(VALU_DEP_1) | instskip(NEXT) | instid1(VALU_DEP_1)
	v_fma_f32 v14, -v14, v17, v16
	v_div_fmas_f32 v14, v14, v15, v17
	s_delay_alu instid0(VALU_DEP_1)
	v_div_fixup_f32 v2, v14, v1, v2
.LBB2_12:                               ;   in Loop: Header=BB2_10 Depth=1
	s_and_not1_b32 vcc_lo, exec_lo, s34
	s_cbranch_vccnz .LBB2_14
; %bb.13:                               ;   in Loop: Header=BB2_10 Depth=1
	global_load_b32 v1, v25, s[12:13]
	s_wait_loadcnt 0x0
	v_div_scale_f32 v14, null, v1, v1, v3
	s_delay_alu instid0(VALU_DEP_1) | instskip(SKIP_1) | instid1(TRANS32_DEP_1)
	v_rcp_f32_e32 v15, v14
	v_nop
	v_fma_f32 v16, -v14, v15, 1.0
	s_delay_alu instid0(VALU_DEP_1) | instskip(SKIP_1) | instid1(VALU_DEP_1)
	v_fmac_f32_e32 v15, v16, v15
	v_div_scale_f32 v16, vcc_lo, v3, v1, v3
	v_mul_f32_e32 v17, v16, v15
	s_delay_alu instid0(VALU_DEP_1) | instskip(NEXT) | instid1(VALU_DEP_1)
	v_fma_f32 v44, -v14, v17, v16
	v_fmac_f32_e32 v17, v44, v15
	s_delay_alu instid0(VALU_DEP_1) | instskip(NEXT) | instid1(VALU_DEP_1)
	v_fma_f32 v14, -v14, v17, v16
	v_div_fmas_f32 v14, v14, v15, v17
	s_delay_alu instid0(VALU_DEP_1)
	v_div_fixup_f32 v3, v14, v1, v3
.LBB2_14:                               ;   in Loop: Header=BB2_10 Depth=1
	s_and_not1_b32 vcc_lo, exec_lo, s34
	;; [unrolled: 23-line block ×3, first 2 shown]
	s_cbranch_vccnz .LBB2_18
; %bb.17:                               ;   in Loop: Header=BB2_10 Depth=1
	global_load_b32 v1, v25, s[12:13]
	s_wait_loadcnt 0x0
	v_div_scale_f32 v14, null, v1, v1, v5
	s_delay_alu instid0(VALU_DEP_1) | instskip(SKIP_1) | instid1(TRANS32_DEP_1)
	v_rcp_f32_e32 v15, v14
	v_nop
	v_fma_f32 v16, -v14, v15, 1.0
	s_delay_alu instid0(VALU_DEP_1) | instskip(SKIP_1) | instid1(VALU_DEP_1)
	v_fmac_f32_e32 v15, v16, v15
	v_div_scale_f32 v16, vcc_lo, v5, v1, v5
	v_mul_f32_e32 v17, v16, v15
	s_delay_alu instid0(VALU_DEP_1) | instskip(NEXT) | instid1(VALU_DEP_1)
	v_fma_f32 v44, -v14, v17, v16
	v_fmac_f32_e32 v17, v44, v15
	s_delay_alu instid0(VALU_DEP_1) | instskip(NEXT) | instid1(VALU_DEP_1)
	v_fma_f32 v14, -v14, v17, v16
	v_div_fmas_f32 v14, v14, v15, v17
	s_delay_alu instid0(VALU_DEP_1)
	v_div_fixup_f32 v5, v14, v1, v5
.LBB2_18:                               ;   in Loop: Header=BB2_10 Depth=1
	s_wait_loadcnt 0x2
	s_delay_alu instid0(VALU_DEP_1) | instskip(NEXT) | instid1(VALU_DEP_1)
	v_dual_cndmask_b32 v1, v4, -v4, s30 :: v_dual_cndmask_b32 v58, v5, -v5, s30
	v_mul_f32_e32 v14, v1, v1
	s_delay_alu instid0(VALU_DEP_1) | instskip(SKIP_1) | instid1(VALU_DEP_1)
	v_fma_f32 v16, -v36, v14, v14
	s_wait_loadcnt 0x0
	v_fmac_f32_e32 v16, v36, v20
	s_delay_alu instid0(VALU_DEP_1) | instskip(SKIP_1) | instid1(VALU_DEP_2)
	v_mul_f32_e32 v14, 0x4f800000, v16
	v_cmp_gt_f32_e32 vcc_lo, 0xf800000, v16
	v_cndmask_b32_e32 v14, v16, v14, vcc_lo
	s_delay_alu instid0(VALU_DEP_1) | instskip(SKIP_1) | instid1(TRANS32_DEP_1)
	v_sqrt_f32_e32 v15, v14
	v_nop
	v_dual_add_nc_u32 v17, -1, v15 :: v_dual_add_nc_u32 v20, 1, v15
	s_delay_alu instid0(VALU_DEP_1) | instskip(NEXT) | instid1(VALU_DEP_1)
	v_dual_fma_f32 v44, -v17, v15, v14 :: v_dual_fma_f32 v45, -v20, v15, v14
	v_cmp_ge_f32_e64 s3, 0, v44
	s_delay_alu instid0(VALU_DEP_1) | instskip(NEXT) | instid1(VALU_DEP_3)
	v_cndmask_b32_e64 v15, v15, v17, s3
	v_cmp_lt_f32_e64 s3, 0, v45
	v_cndmask_b32_e64 v17, v3, -v3, s30
	s_delay_alu instid0(VALU_DEP_1) | instskip(NEXT) | instid1(VALU_DEP_1)
	v_dual_cndmask_b32 v15, v15, v20, s3 :: v_dual_mul_f32 v44, v17, v17
	v_mul_f32_e32 v20, 0x37800000, v15
	s_delay_alu instid0(VALU_DEP_1) | instskip(NEXT) | instid1(VALU_DEP_3)
	v_cndmask_b32_e32 v20, v15, v20, vcc_lo
	v_fma_f32 v15, -v36, v44, v44
	v_cmp_class_f32_e64 vcc_lo, v14, 0x260
	s_delay_alu instid0(VALU_DEP_2) | instskip(NEXT) | instid1(VALU_DEP_1)
	v_fmac_f32_e32 v15, v36, v19
	v_cmp_gt_f32_e64 s3, 0xf800000, v15
	v_cndmask_b32_e32 v14, v20, v14, vcc_lo
	v_mul_f32_e32 v20, 0x4f800000, v15
	s_delay_alu instid0(VALU_DEP_1) | instskip(NEXT) | instid1(VALU_DEP_3)
	v_cndmask_b32_e64 v45, v15, v20, s3
	v_div_scale_f32 v19, null, s31, s31, v14
	v_div_scale_f32 v47, vcc_lo, v14, s31, v14
	s_delay_alu instid0(VALU_DEP_3) | instskip(NEXT) | instid1(VALU_DEP_2)
	v_sqrt_f32_e32 v46, v45
	v_rcp_f32_e32 v44, v19
	s_delay_alu instid0(TRANS32_DEP_2) | instskip(NEXT) | instid1(TRANS32_DEP_1)
	v_add_nc_u32_e32 v49, 1, v46
	v_fma_f32 v20, -v19, v44, 1.0
	s_delay_alu instid0(VALU_DEP_1) | instskip(NEXT) | instid1(VALU_DEP_1)
	v_dual_fma_f32 v52, -v49, v46, v45 :: v_dual_fmac_f32 v44, v20, v44
	v_dual_add_nc_u32 v20, -1, v46 :: v_dual_mul_f32 v48, v47, v44
	s_delay_alu instid0(VALU_DEP_1) | instskip(NEXT) | instid1(VALU_DEP_1)
	v_dual_fma_f32 v51, -v20, v46, v45 :: v_dual_fma_f32 v50, -v19, v48, v47
	v_cmp_ge_f32_e64 s4, 0, v51
	s_delay_alu instid0(VALU_DEP_1) | instskip(SKIP_1) | instid1(VALU_DEP_4)
	v_cndmask_b32_e64 v46, v46, v20, s4
	v_fma_f32 v20, -v38, v1, v1
	v_fmac_f32_e32 v48, v50, v44
	v_cndmask_b32_e64 v50, v2, -v2, s30
	v_cmp_lt_f32_e64 s4, 0, v52
	s_delay_alu instid0(VALU_DEP_1) | instskip(NEXT) | instid1(VALU_DEP_3)
	v_dual_fma_f32 v1, -v19, v48, v47 :: v_dual_cndmask_b32 v19, v46, v49, s4
	v_mul_f32_e32 v46, v50, v50
	s_delay_alu instid0(VALU_DEP_2) | instskip(SKIP_1) | instid1(VALU_DEP_2)
	v_div_fmas_f32 v1, v1, v44, v48
	v_cmp_class_f32_e64 vcc_lo, v45, 0x260
	v_div_fixup_f32 v1, v1, s31, v14
	s_delay_alu instid0(VALU_DEP_4) | instskip(SKIP_1) | instid1(VALU_DEP_3)
	v_fma_f32 v14, -v36, v46, v46
	v_mul_f32_e32 v44, 0x37800000, v19
	v_dual_fmac_f32 v20, v38, v12 :: v_dual_add_f32 v1, v1, v39
	s_delay_alu instid0(VALU_DEP_2) | instskip(NEXT) | instid1(VALU_DEP_1)
	v_dual_fmac_f32 v14, v36, v18 :: v_dual_cndmask_b32 v12, v19, v44, s3
	v_dual_mul_f32 v44, v43, v20 :: v_dual_mul_f32 v19, 0x4f800000, v14
	v_cmp_gt_f32_e64 s3, 0xf800000, v14
	s_delay_alu instid0(VALU_DEP_3) | instskip(NEXT) | instid1(VALU_DEP_3)
	v_cndmask_b32_e32 v12, v12, v45, vcc_lo
	v_div_scale_f32 v18, null, v1, v1, v44
	v_div_scale_f32 v52, vcc_lo, v44, v1, v44
	s_delay_alu instid0(VALU_DEP_4) | instskip(NEXT) | instid1(VALU_DEP_4)
	v_cndmask_b32_e64 v48, v14, v19, s3
	v_div_scale_f32 v45, null, s31, s31, v12
	s_delay_alu instid0(VALU_DEP_4) | instskip(SKIP_1) | instid1(VALU_DEP_2)
	v_rcp_f32_e32 v46, v18
	v_div_scale_f32 v53, s4, v12, s31, v12
	v_rcp_f32_e32 v47, v45
	v_sqrt_f32_e32 v49, v48
	s_delay_alu instid0(TRANS32_DEP_3) | instskip(NEXT) | instid1(TRANS32_DEP_2)
	v_fma_f32 v19, -v18, v46, 1.0
	v_fma_f32 v51, -v45, v47, 1.0
	s_delay_alu instid0(TRANS32_DEP_1) | instid1(VALU_DEP_2)
	v_dual_fmac_f32 v46, v19, v46 :: v_dual_add_nc_u32 v55, 1, v49
	s_delay_alu instid0(VALU_DEP_2) | instskip(NEXT) | instid1(VALU_DEP_2)
	v_dual_add_nc_u32 v19, -1, v49 :: v_dual_fmac_f32 v47, v51, v47
	v_dual_fma_f32 v60, -v55, v49, v48 :: v_dual_mul_f32 v51, v52, v46
	s_delay_alu instid0(VALU_DEP_2) | instskip(NEXT) | instid1(VALU_DEP_2)
	v_dual_fma_f32 v57, -v19, v49, v48 :: v_dual_mul_f32 v54, v53, v47
	v_fma_f32 v56, -v18, v51, v52
	s_delay_alu instid0(VALU_DEP_2) | instskip(NEXT) | instid1(VALU_DEP_3)
	v_cmp_ge_f32_e64 s5, 0, v57
	v_fma_f32 v59, -v45, v54, v53
	s_delay_alu instid0(VALU_DEP_2) | instskip(SKIP_1) | instid1(VALU_DEP_3)
	v_dual_fmac_f32 v51, v56, v46 :: v_dual_cndmask_b32 v49, v49, v19, s5
	v_cmp_lt_f32_e64 s5, 0, v60
	v_dual_fmac_f32 v54, v59, v47 :: v_dual_fma_f32 v19, -v38, v17, v17
	s_delay_alu instid0(VALU_DEP_3) | instskip(NEXT) | instid1(VALU_DEP_3)
	v_fma_f32 v17, -v18, v51, v52
	v_cndmask_b32_e64 v18, v49, v55, s5
	s_delay_alu instid0(VALU_DEP_3) | instskip(NEXT) | instid1(VALU_DEP_3)
	v_dual_fma_f32 v45, -v45, v54, v53 :: v_dual_fmac_f32 v19, v38, v11
	v_div_fmas_f32 v46, v17, v46, v51
	s_mov_b32 vcc_lo, s4
	s_delay_alu instid0(VALU_DEP_2)
	v_div_fmas_f32 v17, v45, v47, v54
	v_mul_f32_e32 v47, v58, v58
	v_cmp_class_f32_e64 vcc_lo, v48, 0x260
	v_mul_f32_e32 v45, 0x37800000, v18
	v_div_fixup_f32 v1, v46, v1, v44
	v_div_fixup_f32 v11, v17, s31, v12
	v_dual_fma_f32 v17, -v36, v47, v47 :: v_dual_fma_f32 v46, -v42, v6, v6
	s_delay_alu instid0(VALU_DEP_4) | instskip(NEXT) | instid1(VALU_DEP_2)
	v_cndmask_b32_e64 v12, v18, v45, s3
	v_dual_fmac_f32 v17, v36, v21 :: v_dual_mul_f32 v45, v43, v19
	s_delay_alu instid0(VALU_DEP_2) | instskip(NEXT) | instid1(VALU_DEP_2)
	v_cndmask_b32_e32 v12, v12, v48, vcc_lo
	v_mul_f32_e32 v18, 0x4f800000, v17
	v_cmp_gt_f32_e64 s3, 0xf800000, v17
	v_add_f32_e32 v11, v11, v39
	s_delay_alu instid0(VALU_DEP_4) | instskip(SKIP_1) | instid1(VALU_DEP_4)
	v_div_scale_f32 v47, null, s31, s31, v12
	v_div_scale_f32 v55, s4, v12, s31, v12
	v_cndmask_b32_e64 v51, v17, v18, s3
	s_delay_alu instid0(VALU_DEP_4) | instskip(NEXT) | instid1(VALU_DEP_4)
	v_div_scale_f32 v21, null, v11, v11, v45
	v_rcp_f32_e32 v49, v47
	v_div_scale_f32 v54, vcc_lo, v45, v11, v45
	s_delay_alu instid0(VALU_DEP_2) | instskip(SKIP_1) | instid1(TRANS32_DEP_3)
	v_rcp_f32_e32 v48, v21
	v_sqrt_f32_e32 v52, v51
	v_fma_f32 v53, -v47, v49, 1.0
	s_delay_alu instid0(TRANS32_DEP_2)
	v_fma_f32 v18, -v21, v48, 1.0
	s_delay_alu instid0(TRANS32_DEP_1) | instid1(VALU_DEP_2)
	v_dual_add_nc_u32 v57, 1, v52 :: v_dual_fmac_f32 v49, v53, v49
	s_delay_alu instid0(VALU_DEP_2) | instskip(NEXT) | instid1(VALU_DEP_2)
	v_fmac_f32_e32 v48, v18, v48
	v_dual_add_nc_u32 v18, -1, v52 :: v_dual_mul_f32 v56, v55, v49
	s_delay_alu instid0(VALU_DEP_3) | instskip(NEXT) | instid1(VALU_DEP_3)
	v_fma_f32 v62, -v57, v52, v51
	v_mul_f32_e32 v53, v54, v48
	s_delay_alu instid0(VALU_DEP_1) | instskip(NEXT) | instid1(VALU_DEP_1)
	v_dual_fma_f32 v60, -v18, v52, v51 :: v_dual_fma_f32 v59, -v21, v53, v54
	v_cmp_ge_f32_e64 s5, 0, v60
	s_delay_alu instid0(VALU_DEP_1) | instskip(NEXT) | instid1(VALU_DEP_1)
	v_dual_fma_f32 v61, -v47, v56, v55 :: v_dual_cndmask_b32 v52, v52, v18, s5
	v_dual_fmac_f32 v53, v59, v48 :: v_dual_fmac_f32 v56, v61, v49
	v_fma_f32 v18, -v38, v50, v50
	v_cmp_lt_f32_e64 s5, 0, v62
	s_delay_alu instid0(VALU_DEP_3) | instskip(NEXT) | instid1(VALU_DEP_2)
	v_dual_fma_f32 v21, -v21, v53, v54 :: v_dual_fma_f32 v47, -v47, v56, v55
	v_dual_fmac_f32 v18, v38, v10 :: v_dual_cndmask_b32 v50, v52, v57, s5
	s_delay_alu instid0(VALU_DEP_2) | instskip(SKIP_1) | instid1(VALU_DEP_3)
	v_div_fmas_f32 v48, v21, v48, v53
	s_mov_b32 vcc_lo, s4
	v_div_fmas_f32 v21, v47, v49, v56
	v_cmp_class_f32_e64 vcc_lo, v51, 0x260
	s_delay_alu instid0(VALU_DEP_3) | instskip(NEXT) | instid1(VALU_DEP_3)
	v_div_fixup_f32 v11, v48, v11, v45
	v_div_fixup_f32 v10, v21, s31, v12
	s_delay_alu instid0(VALU_DEP_1) | instskip(NEXT) | instid1(VALU_DEP_1)
	v_dual_mul_f32 v47, 0x37800000, v50 :: v_dual_add_f32 v10, v10, v39
	v_dual_cndmask_b32 v12, v50, v47, s3 :: v_dual_mul_f32 v47, v43, v18
	s_delay_alu instid0(VALU_DEP_1) | instskip(NEXT) | instid1(VALU_DEP_2)
	v_cndmask_b32_e32 v12, v12, v51, vcc_lo
	v_div_scale_f32 v21, null, v10, v10, v47
	v_div_scale_f32 v54, vcc_lo, v47, v10, v47
	s_delay_alu instid0(VALU_DEP_3) | instskip(NEXT) | instid1(VALU_DEP_3)
	v_div_scale_f32 v49, null, s31, s31, v12
	v_rcp_f32_e32 v50, v21
	s_delay_alu instid0(VALU_DEP_1) | instskip(NEXT) | instid1(TRANS32_DEP_2)
	v_rcp_f32_e32 v51, v49
	v_fma_f32 v52, -v21, v50, 1.0
	s_delay_alu instid0(TRANS32_DEP_1) | instskip(NEXT) | instid1(VALU_DEP_1)
	v_fma_f32 v53, -v49, v51, 1.0
	v_dual_fmac_f32 v51, v53, v51 :: v_dual_fmac_f32 v50, v52, v50
	v_div_scale_f32 v52, s3, v12, s31, v12
	s_delay_alu instid0(VALU_DEP_1) | instskip(NEXT) | instid1(VALU_DEP_1)
	v_dual_mul_f32 v55, v52, v51 :: v_dual_mul_f32 v53, v54, v50
	v_fma_f32 v57, -v49, v55, v52
	s_delay_alu instid0(VALU_DEP_2) | instskip(NEXT) | instid1(VALU_DEP_1)
	v_fma_f32 v56, -v21, v53, v54
	v_dual_fmac_f32 v55, v57, v51 :: v_dual_fmac_f32 v53, v56, v50
	v_fma_f32 v56, -v42, v7, v7
	s_delay_alu instid0(VALU_DEP_2) | instskip(NEXT) | instid1(VALU_DEP_3)
	v_fma_f32 v49, -v49, v55, v52
	v_fma_f32 v54, -v21, v53, v54
	s_delay_alu instid0(VALU_DEP_3) | instskip(NEXT) | instid1(VALU_DEP_2)
	v_dual_fma_f32 v21, -v38, v58, v58 :: v_dual_cndmask_b32 v7, v7, v56, s2
	v_div_fmas_f32 v50, v54, v50, v53
	s_mov_b32 vcc_lo, s3
	s_delay_alu instid0(VALU_DEP_2) | instskip(SKIP_3) | instid1(VALU_DEP_3)
	v_sub_f32_e32 v7, v7, v11
	v_div_fmas_f32 v49, v49, v51, v55
	v_fma_f32 v55, -v42, v8, v8
	v_div_fixup_f32 v10, v50, v10, v47
	v_div_fixup_f32 v12, v49, s31, v12
	s_delay_alu instid0(VALU_DEP_1) | instskip(NEXT) | instid1(VALU_DEP_1)
	v_dual_fmac_f32 v21, v38, v13 :: v_dual_add_f32 v12, v12, v39
	v_mul_f32_e32 v13, v43, v21
	s_delay_alu instid0(VALU_DEP_1) | instskip(NEXT) | instid1(VALU_DEP_1)
	v_div_scale_f32 v49, null, v12, v12, v13
	v_rcp_f32_e32 v51, v49
	v_nop
	s_delay_alu instid0(TRANS32_DEP_1) | instskip(NEXT) | instid1(VALU_DEP_1)
	v_fma_f32 v52, -v49, v51, 1.0
	v_fmac_f32_e32 v51, v52, v51
	v_div_scale_f32 v52, vcc_lo, v13, v12, v13
	s_delay_alu instid0(VALU_DEP_1) | instskip(NEXT) | instid1(VALU_DEP_1)
	v_mul_f32_e32 v53, v52, v51
	v_fma_f32 v54, -v49, v53, v52
	s_delay_alu instid0(VALU_DEP_1) | instskip(NEXT) | instid1(VALU_DEP_1)
	v_fmac_f32_e32 v53, v54, v51
	v_dual_cndmask_b32 v8, v8, v55, s2 :: v_dual_fma_f32 v44, -v49, v53, v52
	v_fma_f32 v49, -v42, v9, v9
	s_delay_alu instid0(VALU_DEP_2) | instskip(NEXT) | instid1(VALU_DEP_3)
	v_dual_cndmask_b32 v6, v6, v46, s2 :: v_dual_sub_f32 v8, v8, v1
	v_div_fmas_f32 v44, v44, v51, v53
	s_delay_alu instid0(VALU_DEP_3) | instskip(SKIP_1) | instid1(VALU_DEP_2)
	v_cndmask_b32_e64 v9, v9, v49, s2
	s_and_not1_b32 vcc_lo, exec_lo, s34
	v_div_fixup_f32 v12, v44, v12, v13
	s_delay_alu instid0(VALU_DEP_1)
	v_dual_sub_f32 v6, v6, v10 :: v_dual_sub_f32 v9, v9, v12
	global_store_b128 v[34:35], v[6:9], off
	s_cbranch_vccnz .LBB2_9
; %bb.19:                               ;   in Loop: Header=BB2_10 Depth=1
	global_store_b128 v[32:33], v[2:5], off
	s_branch .LBB2_9
.LBB2_20:
                                        ; implicit-def: $sgpr4
	v_mov_b32_e32 v37, s4
	s_branch .LBB2_2
.LBB2_21:
	s_or_b32 exec_lo, exec_lo, s33
	s_mov_b32 s2, 0
.LBB2_22:
	s_delay_alu instid0(SALU_CYCLE_1)
	s_and_not1_b32 vcc_lo, exec_lo, s2
	s_cbranch_vccnz .LBB2_84
; %bb.23:
	v_cmp_lt_i64_e64 s2, s[16:17], 1
	s_and_b32 vcc_lo, exec_lo, s2
	s_cbranch_vccnz .LBB2_84
; %bb.24:
	v_div_scale_f32 v1, null, v41, v41, v37
	v_div_scale_f32 v8, vcc_lo, v37, v41, v37
	v_min_i64 v[2:3], 0x10000, s[16:17]
	s_delay_alu instid0(VALU_DEP_3)
	v_rcp_f32_e32 v6, v1
	v_xor_b32_e32 v7, 0x80000000, v1
	v_min_u64 v[4:5], 0x10000, s[16:17]
	s_load_b32 s0, s[0:1], 0xd64
	s_mov_b32 s17, 0
	s_mov_b64 s[22:23], 0
	s_mov_b32 s19, s17
	v_fma_f32 v1, v7, v6, 1.0
	s_mov_b32 s21, s17
	s_mov_b32 s25, s17
	v_mul_f32_e32 v14, v37, v40
	s_delay_alu instid0(VALU_DEP_2) | instskip(NEXT) | instid1(VALU_DEP_1)
	v_fmac_f32_e32 v6, v1, v6
	v_mul_f32_e32 v9, v8, v6
	s_delay_alu instid0(VALU_DEP_1)
	v_fma_f32 v1, v7, v9, v8
	s_wait_kmcnt 0x0
	s_and_b32 s16, s0, 0xffff
	v_cmp_neq_f32_e64 s0, 0, v40
	s_lshl_b32 s18, s16, 1
	s_cmp_lg_u64 s[12:13], 0
	v_dual_fmac_f32 v9, v1, v6 :: v_dual_mov_b32 v1, 0
	s_mul_i32 s20, s16, 3
	s_cselect_b32 s26, -1, 0
	s_lshl_b32 s24, s16, 2
	s_delay_alu instid0(VALU_DEP_1) | instskip(NEXT) | instid1(VALU_DEP_1)
	v_fmac_f32_e32 v8, v7, v9
	v_div_fmas_f32 v6, v8, v6, v9
	s_delay_alu instid0(VALU_DEP_1)
	v_div_fixup_f32 v15, v6, v41, v37
	s_branch .LBB2_26
.LBB2_25:                               ;   in Loop: Header=BB2_26 Depth=1
	s_wait_xcnt 0x0
	s_or_b32 exec_lo, exec_lo, s1
	s_add_nc_u64 s[22:23], s[22:23], s[24:25]
	s_delay_alu instid0(SALU_CYCLE_1)
	v_cmp_ge_i64_e32 vcc_lo, s[22:23], v[2:3]
	s_cbranch_vccnz .LBB2_84
.LBB2_26:                               ; =>This Inner Loop Header: Depth=1
	v_add_nc_u64_e32 v[6:7], s[22:23], v[0:1]
	v_dual_mov_b32 v16, 0 :: v_dual_mov_b32 v27, 0
	s_delay_alu instid0(VALU_DEP_2)
	v_cmp_lt_u64_e32 vcc_lo, v[6:7], v[4:5]
	s_and_saveexec_b32 s1, vcc_lo
	s_cbranch_execz .LBB2_28
; %bb.27:                               ;   in Loop: Header=BB2_26 Depth=1
	v_lshlrev_b64_e32 v[8:9], 2, v[6:7]
	s_delay_alu instid0(VALU_DEP_1)
	v_add_nc_u64_e32 v[10:11], s[6:7], v[8:9]
	v_add_nc_u64_e32 v[8:9], s[8:9], v[8:9]
	global_load_b32 v27, v[10:11], off
	global_load_b32 v16, v[8:9], off
.LBB2_28:                               ;   in Loop: Header=BB2_26 Depth=1
	s_wait_xcnt 0x0
	s_or_b32 exec_lo, exec_lo, s1
	v_dual_mov_b32 v17, 0 :: v_dual_mov_b32 v32, 0
	v_mov_b32_e32 v33, 0
	s_and_saveexec_b32 s1, vcc_lo
	s_cbranch_execz .LBB2_30
; %bb.29:                               ;   in Loop: Header=BB2_26 Depth=1
	v_lshlrev_b64_e32 v[8:9], 2, v[6:7]
	s_delay_alu instid0(VALU_DEP_1)
	v_add_nc_u64_e32 v[10:11], s[10:11], v[8:9]
	v_add_nc_u64_e32 v[8:9], s[14:15], v[8:9]
	global_load_b32 v33, v[10:11], off
	global_load_b32 v32, v[8:9], off
.LBB2_30:                               ;   in Loop: Header=BB2_26 Depth=1
	s_wait_xcnt 0x0
	s_or_b32 exec_lo, exec_lo, s1
	v_add_nc_u64_e32 v[8:9], s[16:17], v[6:7]
	v_mov_b32_e32 v23, 0
	s_delay_alu instid0(VALU_DEP_2)
	v_cmp_lt_u64_e32 vcc_lo, v[8:9], v[4:5]
	s_and_saveexec_b32 s1, vcc_lo
	s_cbranch_execz .LBB2_32
; %bb.31:                               ;   in Loop: Header=BB2_26 Depth=1
	v_lshlrev_b64_e32 v[10:11], 2, v[8:9]
	s_delay_alu instid0(VALU_DEP_1)
	v_add_nc_u64_e32 v[12:13], s[6:7], v[10:11]
	v_add_nc_u64_e32 v[10:11], s[8:9], v[10:11]
	global_load_b32 v23, v[12:13], off
	global_load_b32 v17, v[10:11], off
.LBB2_32:                               ;   in Loop: Header=BB2_26 Depth=1
	s_wait_xcnt 0x0
	s_or_b32 exec_lo, exec_lo, s1
	v_dual_mov_b32 v18, 0 :: v_dual_mov_b32 v30, 0
	v_mov_b32_e32 v31, 0
	s_and_saveexec_b32 s1, vcc_lo
	s_cbranch_execz .LBB2_34
; %bb.33:                               ;   in Loop: Header=BB2_26 Depth=1
	v_lshlrev_b64_e32 v[10:11], 2, v[8:9]
	s_delay_alu instid0(VALU_DEP_1)
	v_add_nc_u64_e32 v[12:13], s[10:11], v[10:11]
	v_add_nc_u64_e32 v[10:11], s[14:15], v[10:11]
	global_load_b32 v31, v[12:13], off
	global_load_b32 v30, v[10:11], off
.LBB2_34:                               ;   in Loop: Header=BB2_26 Depth=1
	s_wait_xcnt 0x0
	s_or_b32 exec_lo, exec_lo, s1
	v_add_nc_u64_e32 v[10:11], s[18:19], v[6:7]
	v_mov_b32_e32 v21, 0
	;; [unrolled: 30-line block ×3, first 2 shown]
	s_delay_alu instid0(VALU_DEP_2)
	v_cmp_lt_u64_e32 vcc_lo, v[12:13], v[4:5]
	s_and_saveexec_b32 s1, vcc_lo
	s_cbranch_execz .LBB2_40
; %bb.39:                               ;   in Loop: Header=BB2_26 Depth=1
	v_lshlrev_b64_e32 v[24:25], 2, v[12:13]
	s_delay_alu instid0(VALU_DEP_1)
	v_add_nc_u64_e32 v[34:35], s[6:7], v[24:25]
	v_add_nc_u64_e32 v[24:25], s[8:9], v[24:25]
	global_load_b32 v20, v[34:35], off
	global_load_b32 v19, v[24:25], off
.LBB2_40:                               ;   in Loop: Header=BB2_26 Depth=1
	s_wait_xcnt 0x0
	s_or_b32 exec_lo, exec_lo, s1
	v_dual_mov_b32 v24, 0 :: v_dual_mov_b32 v26, 0
	s_and_saveexec_b32 s1, vcc_lo
	s_cbranch_execz .LBB2_42
; %bb.41:                               ;   in Loop: Header=BB2_26 Depth=1
	v_lshlrev_b64_e32 v[24:25], 2, v[12:13]
	s_delay_alu instid0(VALU_DEP_1)
	v_add_nc_u64_e32 v[34:35], s[10:11], v[24:25]
	v_add_nc_u64_e32 v[40:41], s[14:15], v[24:25]
	global_load_b32 v26, v[34:35], off
	global_load_b32 v24, v[40:41], off
.LBB2_42:                               ;   in Loop: Header=BB2_26 Depth=1
	s_wait_xcnt 0x0
	s_or_b32 exec_lo, exec_lo, s1
	s_delay_alu instid0(SALU_CYCLE_1)
	s_and_not1_b32 vcc_lo, exec_lo, s26
	s_cbranch_vccnz .LBB2_44
; %bb.43:                               ;   in Loop: Header=BB2_26 Depth=1
	global_load_b32 v22, v1, s[12:13]
	s_wait_loadcnt 0x0
	v_div_scale_f32 v25, null, v22, v22, v16
	s_delay_alu instid0(VALU_DEP_1) | instskip(SKIP_1) | instid1(TRANS32_DEP_1)
	v_rcp_f32_e32 v34, v25
	v_nop
	v_fma_f32 v35, -v25, v34, 1.0
	s_delay_alu instid0(VALU_DEP_1) | instskip(SKIP_1) | instid1(VALU_DEP_1)
	v_fmac_f32_e32 v34, v35, v34
	v_div_scale_f32 v35, vcc_lo, v16, v22, v16
	v_mul_f32_e32 v37, v35, v34
	s_delay_alu instid0(VALU_DEP_1) | instskip(NEXT) | instid1(VALU_DEP_1)
	v_fma_f32 v40, -v25, v37, v35
	v_fmac_f32_e32 v37, v40, v34
	s_delay_alu instid0(VALU_DEP_1) | instskip(NEXT) | instid1(VALU_DEP_1)
	v_fma_f32 v25, -v25, v37, v35
	v_div_fmas_f32 v25, v25, v34, v37
	s_delay_alu instid0(VALU_DEP_1)
	v_div_fixup_f32 v16, v25, v22, v16
.LBB2_44:                               ;   in Loop: Header=BB2_26 Depth=1
	s_and_not1_b32 vcc_lo, exec_lo, s26
	s_cbranch_vccnz .LBB2_46
; %bb.45:                               ;   in Loop: Header=BB2_26 Depth=1
	global_load_b32 v22, v1, s[12:13]
	s_wait_loadcnt 0x0
	v_div_scale_f32 v25, null, v22, v22, v17
	s_delay_alu instid0(VALU_DEP_1) | instskip(SKIP_1) | instid1(TRANS32_DEP_1)
	v_rcp_f32_e32 v34, v25
	v_nop
	v_fma_f32 v35, -v25, v34, 1.0
	s_delay_alu instid0(VALU_DEP_1) | instskip(SKIP_1) | instid1(VALU_DEP_1)
	v_fmac_f32_e32 v34, v35, v34
	v_div_scale_f32 v35, vcc_lo, v17, v22, v17
	v_mul_f32_e32 v37, v35, v34
	s_delay_alu instid0(VALU_DEP_1) | instskip(NEXT) | instid1(VALU_DEP_1)
	v_fma_f32 v40, -v25, v37, v35
	v_fmac_f32_e32 v37, v40, v34
	s_delay_alu instid0(VALU_DEP_1) | instskip(NEXT) | instid1(VALU_DEP_1)
	v_fma_f32 v25, -v25, v37, v35
	v_div_fmas_f32 v25, v25, v34, v37
	s_delay_alu instid0(VALU_DEP_1)
	v_div_fixup_f32 v17, v25, v22, v17
.LBB2_46:                               ;   in Loop: Header=BB2_26 Depth=1
	;; [unrolled: 23-line block ×4, first 2 shown]
	s_wait_loadcnt 0x0
	v_cndmask_b32_e64 v22, v16, -v16, s30
	v_cmp_lt_i64_e64 s1, v[6:7], v[2:3]
	s_delay_alu instid0(VALU_DEP_2) | instskip(NEXT) | instid1(VALU_DEP_1)
	v_fma_f32 v25, -v38, v22, v22
	v_fmac_f32_e32 v25, v38, v33
	v_mul_f32_e32 v34, v22, v22
	s_delay_alu instid0(VALU_DEP_1) | instskip(NEXT) | instid1(VALU_DEP_1)
	v_fma_f32 v22, -v36, v34, v34
	v_fmac_f32_e32 v22, v36, v32
	s_wait_xcnt 0x0
	s_and_saveexec_b32 s3, s1
	s_cbranch_execz .LBB2_52
; %bb.51:                               ;   in Loop: Header=BB2_26 Depth=1
	s_delay_alu instid0(VALU_DEP_1) | instskip(SKIP_1) | instid1(VALU_DEP_2)
	v_mul_f32_e32 v32, 0x4f800000, v22
	v_cmp_gt_f32_e32 vcc_lo, 0xf800000, v22
	v_cndmask_b32_e32 v32, v22, v32, vcc_lo
	s_delay_alu instid0(VALU_DEP_1) | instskip(SKIP_1) | instid1(TRANS32_DEP_1)
	v_sqrt_f32_e32 v33, v32
	v_nop
	v_dual_add_nc_u32 v34, -1, v33 :: v_dual_add_nc_u32 v35, 1, v33
	s_delay_alu instid0(VALU_DEP_1) | instskip(NEXT) | instid1(VALU_DEP_1)
	v_dual_fma_f32 v37, -v34, v33, v32 :: v_dual_fma_f32 v40, -v35, v33, v32
	v_cmp_ge_f32_e64 s2, 0, v37
	s_delay_alu instid0(VALU_DEP_1) | instskip(NEXT) | instid1(VALU_DEP_3)
	v_cndmask_b32_e64 v33, v33, v34, s2
	v_cmp_lt_f32_e64 s2, 0, v40
	s_delay_alu instid0(VALU_DEP_1) | instskip(NEXT) | instid1(VALU_DEP_1)
	v_cndmask_b32_e64 v33, v33, v35, s2
	v_mul_f32_e32 v34, 0x37800000, v33
	s_delay_alu instid0(VALU_DEP_1) | instskip(SKIP_1) | instid1(VALU_DEP_2)
	v_cndmask_b32_e32 v33, v33, v34, vcc_lo
	v_cmp_class_f32_e64 vcc_lo, v32, 0x260
	v_cndmask_b32_e32 v32, v33, v32, vcc_lo
	s_delay_alu instid0(VALU_DEP_1) | instskip(SKIP_1) | instid1(VALU_DEP_2)
	v_div_scale_f32 v33, null, s31, s31, v32
	v_div_scale_f32 v37, vcc_lo, v32, s31, v32
	v_rcp_f32_e32 v34, v33
	v_nop
	s_delay_alu instid0(TRANS32_DEP_1) | instskip(NEXT) | instid1(VALU_DEP_1)
	v_fma_f32 v35, -v33, v34, 1.0
	v_fmac_f32_e32 v34, v35, v34
	s_delay_alu instid0(VALU_DEP_1) | instskip(NEXT) | instid1(VALU_DEP_1)
	v_mul_f32_e32 v35, v37, v34
	v_fma_f32 v40, -v33, v35, v37
	s_delay_alu instid0(VALU_DEP_1) | instskip(NEXT) | instid1(VALU_DEP_1)
	v_fmac_f32_e32 v35, v40, v34
	v_fma_f32 v33, -v33, v35, v37
	s_delay_alu instid0(VALU_DEP_1) | instskip(NEXT) | instid1(VALU_DEP_1)
	v_div_fmas_f32 v33, v33, v34, v35
	v_div_fixup_f32 v32, v33, s31, v32
	s_delay_alu instid0(VALU_DEP_1) | instskip(NEXT) | instid1(VALU_DEP_1)
	v_dual_mul_f32 v33, v15, v25 :: v_dual_add_f32 v32, v32, v39
	v_div_scale_f32 v34, null, v32, v32, v33
	v_div_scale_f32 v40, vcc_lo, v33, v32, v33
	s_delay_alu instid0(VALU_DEP_2) | instskip(SKIP_1) | instid1(TRANS32_DEP_1)
	v_rcp_f32_e32 v35, v34
	v_nop
	v_fma_f32 v37, -v34, v35, 1.0
	s_delay_alu instid0(VALU_DEP_1) | instskip(NEXT) | instid1(VALU_DEP_1)
	v_fmac_f32_e32 v35, v37, v35
	v_mul_f32_e32 v37, v40, v35
	s_delay_alu instid0(VALU_DEP_1) | instskip(NEXT) | instid1(VALU_DEP_1)
	v_fma_f32 v41, -v34, v37, v40
	v_fmac_f32_e32 v37, v41, v35
	s_delay_alu instid0(VALU_DEP_1) | instskip(SKIP_1) | instid1(VALU_DEP_1)
	v_fma_f32 v34, -v34, v37, v40
	v_fma_f32 v40, -v14, v27, v27
	v_cndmask_b32_e64 v27, v27, v40, s0
	s_delay_alu instid0(VALU_DEP_3) | instskip(NEXT) | instid1(VALU_DEP_1)
	v_div_fmas_f32 v34, v34, v35, v37
	v_div_fixup_f32 v32, v34, v32, v33
	s_delay_alu instid0(VALU_DEP_1)
	v_sub_f32_e32 v27, v27, v32
	v_lshl_add_u64 v[32:33], v[6:7], 2, s[6:7]
	global_store_b32 v[32:33], v27, off
.LBB2_52:                               ;   in Loop: Header=BB2_26 Depth=1
	s_wait_xcnt 0x0
	s_or_b32 exec_lo, exec_lo, s3
	v_cndmask_b32_e64 v27, v17, -v17, s30
	v_cmp_lt_i64_e64 s2, v[8:9], v[2:3]
	s_delay_alu instid0(VALU_DEP_2) | instskip(NEXT) | instid1(VALU_DEP_1)
	v_fma_f32 v32, -v38, v27, v27
	v_fmac_f32_e32 v32, v38, v31
	v_mul_f32_e32 v33, v27, v27
	s_delay_alu instid0(VALU_DEP_1) | instskip(NEXT) | instid1(VALU_DEP_1)
	v_fma_f32 v27, -v36, v33, v33
	v_fmac_f32_e32 v27, v36, v30
	s_and_saveexec_b32 s4, s2
	s_cbranch_execz .LBB2_54
; %bb.53:                               ;   in Loop: Header=BB2_26 Depth=1
	s_delay_alu instid0(VALU_DEP_1) | instskip(SKIP_1) | instid1(VALU_DEP_1)
	v_cmp_gt_f32_e32 vcc_lo, 0xf800000, v27
	v_mul_f32_e32 v30, 0x4f800000, v27
	v_cndmask_b32_e32 v30, v27, v30, vcc_lo
	s_delay_alu instid0(VALU_DEP_1) | instskip(SKIP_1) | instid1(TRANS32_DEP_1)
	v_sqrt_f32_e32 v31, v30
	v_nop
	v_dual_add_nc_u32 v33, -1, v31 :: v_dual_add_nc_u32 v34, 1, v31
	s_delay_alu instid0(VALU_DEP_1) | instskip(NEXT) | instid1(VALU_DEP_1)
	v_fma_f32 v35, -v33, v31, v30
	v_cmp_ge_f32_e64 s3, 0, v35
	s_delay_alu instid0(VALU_DEP_1) | instskip(NEXT) | instid1(VALU_DEP_1)
	v_dual_fma_f32 v37, -v34, v31, v30 :: v_dual_cndmask_b32 v31, v31, v33, s3
	v_cmp_lt_f32_e64 s3, 0, v37
	s_delay_alu instid0(VALU_DEP_1) | instskip(NEXT) | instid1(VALU_DEP_1)
	v_cndmask_b32_e64 v31, v31, v34, s3
	v_mul_f32_e32 v33, 0x37800000, v31
	s_delay_alu instid0(VALU_DEP_1) | instskip(SKIP_1) | instid1(VALU_DEP_2)
	v_cndmask_b32_e32 v31, v31, v33, vcc_lo
	v_cmp_class_f32_e64 vcc_lo, v30, 0x260
	v_cndmask_b32_e32 v30, v31, v30, vcc_lo
	s_delay_alu instid0(VALU_DEP_1) | instskip(SKIP_1) | instid1(VALU_DEP_2)
	v_div_scale_f32 v31, null, s31, s31, v30
	v_div_scale_f32 v35, vcc_lo, v30, s31, v30
	v_rcp_f32_e32 v33, v31
	v_nop
	s_delay_alu instid0(TRANS32_DEP_1) | instskip(NEXT) | instid1(VALU_DEP_1)
	v_fma_f32 v34, -v31, v33, 1.0
	v_fmac_f32_e32 v33, v34, v33
	s_delay_alu instid0(VALU_DEP_1) | instskip(NEXT) | instid1(VALU_DEP_1)
	v_mul_f32_e32 v34, v35, v33
	v_fma_f32 v37, -v31, v34, v35
	s_delay_alu instid0(VALU_DEP_1) | instskip(NEXT) | instid1(VALU_DEP_1)
	v_fmac_f32_e32 v34, v37, v33
	v_fma_f32 v31, -v31, v34, v35
	s_delay_alu instid0(VALU_DEP_1) | instskip(NEXT) | instid1(VALU_DEP_1)
	v_div_fmas_f32 v31, v31, v33, v34
	v_div_fixup_f32 v30, v31, s31, v30
	s_delay_alu instid0(VALU_DEP_1) | instskip(NEXT) | instid1(VALU_DEP_1)
	v_dual_mul_f32 v31, v15, v32 :: v_dual_add_f32 v30, v30, v39
	v_div_scale_f32 v33, null, v30, v30, v31
	v_div_scale_f32 v37, vcc_lo, v31, v30, v31
	s_delay_alu instid0(VALU_DEP_2) | instskip(SKIP_1) | instid1(TRANS32_DEP_1)
	v_rcp_f32_e32 v34, v33
	v_nop
	v_fma_f32 v35, -v33, v34, 1.0
	s_delay_alu instid0(VALU_DEP_1) | instskip(NEXT) | instid1(VALU_DEP_1)
	v_fmac_f32_e32 v34, v35, v34
	v_mul_f32_e32 v35, v37, v34
	s_delay_alu instid0(VALU_DEP_1) | instskip(NEXT) | instid1(VALU_DEP_1)
	v_fma_f32 v40, -v33, v35, v37
	v_fmac_f32_e32 v35, v40, v34
	s_delay_alu instid0(VALU_DEP_1) | instskip(SKIP_1) | instid1(VALU_DEP_1)
	v_fma_f32 v33, -v33, v35, v37
	v_fma_f32 v37, -v14, v23, v23
	v_cndmask_b32_e64 v23, v23, v37, s0
	s_delay_alu instid0(VALU_DEP_3) | instskip(NEXT) | instid1(VALU_DEP_1)
	v_div_fmas_f32 v33, v33, v34, v35
	v_div_fixup_f32 v30, v33, v30, v31
	s_delay_alu instid0(VALU_DEP_1)
	v_sub_f32_e32 v23, v23, v30
	v_lshl_add_u64 v[30:31], v[8:9], 2, s[6:7]
	global_store_b32 v[30:31], v23, off
.LBB2_54:                               ;   in Loop: Header=BB2_26 Depth=1
	s_wait_xcnt 0x0
	s_or_b32 exec_lo, exec_lo, s4
	v_cndmask_b32_e64 v23, v18, -v18, s30
	v_cmp_lt_i64_e64 s3, v[10:11], v[2:3]
	s_delay_alu instid0(VALU_DEP_2) | instskip(NEXT) | instid1(VALU_DEP_1)
	v_dual_mul_f32 v31, v23, v23 :: v_dual_fma_f32 v30, -v38, v23, v23
	v_dual_fma_f32 v23, -v36, v31, v31 :: v_dual_fmac_f32 v30, v38, v29
	s_delay_alu instid0(VALU_DEP_1)
	v_fmac_f32_e32 v23, v36, v28
	s_and_saveexec_b32 s5, s3
	s_cbranch_execz .LBB2_56
; %bb.55:                               ;   in Loop: Header=BB2_26 Depth=1
	s_delay_alu instid0(VALU_DEP_1) | instskip(SKIP_1) | instid1(VALU_DEP_2)
	v_mul_f32_e32 v28, 0x4f800000, v23
	v_cmp_gt_f32_e32 vcc_lo, 0xf800000, v23
	v_cndmask_b32_e32 v28, v23, v28, vcc_lo
	s_delay_alu instid0(VALU_DEP_1) | instskip(SKIP_1) | instid1(TRANS32_DEP_1)
	v_sqrt_f32_e32 v29, v28
	v_nop
	v_dual_add_nc_u32 v31, -1, v29 :: v_dual_add_nc_u32 v33, 1, v29
	s_delay_alu instid0(VALU_DEP_1) | instskip(NEXT) | instid1(VALU_DEP_1)
	v_dual_fma_f32 v34, -v31, v29, v28 :: v_dual_fma_f32 v35, -v33, v29, v28
	v_cmp_ge_f32_e64 s4, 0, v34
	s_delay_alu instid0(VALU_DEP_1) | instskip(NEXT) | instid1(VALU_DEP_3)
	v_cndmask_b32_e64 v29, v29, v31, s4
	v_cmp_lt_f32_e64 s4, 0, v35
	s_delay_alu instid0(VALU_DEP_1) | instskip(NEXT) | instid1(VALU_DEP_1)
	v_cndmask_b32_e64 v29, v29, v33, s4
	v_mul_f32_e32 v31, 0x37800000, v29
	s_delay_alu instid0(VALU_DEP_1) | instskip(SKIP_1) | instid1(VALU_DEP_2)
	v_cndmask_b32_e32 v29, v29, v31, vcc_lo
	v_cmp_class_f32_e64 vcc_lo, v28, 0x260
	v_cndmask_b32_e32 v28, v29, v28, vcc_lo
	s_delay_alu instid0(VALU_DEP_1) | instskip(SKIP_1) | instid1(VALU_DEP_2)
	v_div_scale_f32 v29, null, s31, s31, v28
	v_div_scale_f32 v34, vcc_lo, v28, s31, v28
	v_rcp_f32_e32 v31, v29
	v_nop
	s_delay_alu instid0(TRANS32_DEP_1) | instskip(NEXT) | instid1(VALU_DEP_1)
	v_fma_f32 v33, -v29, v31, 1.0
	v_fmac_f32_e32 v31, v33, v31
	s_delay_alu instid0(VALU_DEP_1) | instskip(NEXT) | instid1(VALU_DEP_1)
	v_mul_f32_e32 v33, v34, v31
	v_fma_f32 v35, -v29, v33, v34
	s_delay_alu instid0(VALU_DEP_1) | instskip(NEXT) | instid1(VALU_DEP_1)
	v_fmac_f32_e32 v33, v35, v31
	v_fma_f32 v29, -v29, v33, v34
	s_delay_alu instid0(VALU_DEP_1) | instskip(NEXT) | instid1(VALU_DEP_1)
	v_div_fmas_f32 v29, v29, v31, v33
	v_div_fixup_f32 v28, v29, s31, v28
	s_delay_alu instid0(VALU_DEP_1) | instskip(NEXT) | instid1(VALU_DEP_1)
	v_dual_mul_f32 v29, v15, v30 :: v_dual_add_f32 v28, v28, v39
	v_div_scale_f32 v31, null, v28, v28, v29
	v_div_scale_f32 v35, vcc_lo, v29, v28, v29
	s_delay_alu instid0(VALU_DEP_2) | instskip(SKIP_1) | instid1(TRANS32_DEP_1)
	v_rcp_f32_e32 v33, v31
	v_nop
	v_fma_f32 v34, -v31, v33, 1.0
	s_delay_alu instid0(VALU_DEP_1) | instskip(NEXT) | instid1(VALU_DEP_1)
	v_fmac_f32_e32 v33, v34, v33
	v_mul_f32_e32 v34, v35, v33
	s_delay_alu instid0(VALU_DEP_1) | instskip(NEXT) | instid1(VALU_DEP_1)
	v_fma_f32 v37, -v31, v34, v35
	v_fmac_f32_e32 v34, v37, v33
	s_delay_alu instid0(VALU_DEP_1) | instskip(NEXT) | instid1(VALU_DEP_1)
	v_fma_f32 v31, -v31, v34, v35
	v_div_fmas_f32 v31, v31, v33, v34
	s_delay_alu instid0(VALU_DEP_1) | instskip(SKIP_1) | instid1(VALU_DEP_1)
	v_div_fixup_f32 v28, v31, v28, v29
	v_fma_f32 v35, -v14, v21, v21
	v_cndmask_b32_e64 v21, v21, v35, s0
	s_delay_alu instid0(VALU_DEP_1)
	v_sub_f32_e32 v21, v21, v28
	v_lshl_add_u64 v[28:29], v[10:11], 2, s[6:7]
	global_store_b32 v[28:29], v21, off
.LBB2_56:                               ;   in Loop: Header=BB2_26 Depth=1
	s_wait_xcnt 0x0
	s_or_b32 exec_lo, exec_lo, s5
	v_cndmask_b32_e64 v21, v19, -v19, s30
	v_cmp_lt_i64_e64 s4, v[12:13], v[2:3]
	s_delay_alu instid0(VALU_DEP_2) | instskip(NEXT) | instid1(VALU_DEP_1)
	v_fma_f32 v28, -v38, v21, v21
	v_dual_fmac_f32 v28, v38, v26 :: v_dual_mul_f32 v29, v21, v21
	s_delay_alu instid0(VALU_DEP_1) | instskip(NEXT) | instid1(VALU_DEP_1)
	v_fma_f32 v21, -v36, v29, v29
	v_fmac_f32_e32 v21, v36, v24
	s_and_saveexec_b32 s27, s4
	s_cbranch_execz .LBB2_58
; %bb.57:                               ;   in Loop: Header=BB2_26 Depth=1
	s_delay_alu instid0(VALU_DEP_1) | instskip(SKIP_1) | instid1(VALU_DEP_2)
	v_mul_f32_e32 v24, 0x4f800000, v21
	v_cmp_gt_f32_e32 vcc_lo, 0xf800000, v21
	v_cndmask_b32_e32 v24, v21, v24, vcc_lo
	s_delay_alu instid0(VALU_DEP_1) | instskip(SKIP_1) | instid1(TRANS32_DEP_1)
	v_sqrt_f32_e32 v26, v24
	v_nop
	v_dual_add_nc_u32 v29, -1, v26 :: v_dual_add_nc_u32 v31, 1, v26
	s_delay_alu instid0(VALU_DEP_1) | instskip(NEXT) | instid1(VALU_DEP_1)
	v_dual_fma_f32 v33, -v29, v26, v24 :: v_dual_fma_f32 v34, -v31, v26, v24
	v_cmp_ge_f32_e64 s5, 0, v33
	s_delay_alu instid0(VALU_DEP_1) | instskip(NEXT) | instid1(VALU_DEP_3)
	v_cndmask_b32_e64 v26, v26, v29, s5
	v_cmp_lt_f32_e64 s5, 0, v34
	s_delay_alu instid0(VALU_DEP_1) | instskip(NEXT) | instid1(VALU_DEP_1)
	v_cndmask_b32_e64 v26, v26, v31, s5
	v_mul_f32_e32 v29, 0x37800000, v26
	s_delay_alu instid0(VALU_DEP_1) | instskip(SKIP_1) | instid1(VALU_DEP_2)
	v_cndmask_b32_e32 v26, v26, v29, vcc_lo
	v_cmp_class_f32_e64 vcc_lo, v24, 0x260
	v_cndmask_b32_e32 v24, v26, v24, vcc_lo
	s_delay_alu instid0(VALU_DEP_1) | instskip(SKIP_1) | instid1(VALU_DEP_2)
	v_div_scale_f32 v26, null, s31, s31, v24
	v_div_scale_f32 v33, vcc_lo, v24, s31, v24
	v_rcp_f32_e32 v29, v26
	v_nop
	s_delay_alu instid0(TRANS32_DEP_1) | instskip(NEXT) | instid1(VALU_DEP_1)
	v_fma_f32 v31, -v26, v29, 1.0
	v_fmac_f32_e32 v29, v31, v29
	s_delay_alu instid0(VALU_DEP_1) | instskip(NEXT) | instid1(VALU_DEP_1)
	v_mul_f32_e32 v31, v33, v29
	v_fma_f32 v34, -v26, v31, v33
	s_delay_alu instid0(VALU_DEP_1) | instskip(NEXT) | instid1(VALU_DEP_1)
	v_fmac_f32_e32 v31, v34, v29
	v_fma_f32 v26, -v26, v31, v33
	s_delay_alu instid0(VALU_DEP_1) | instskip(NEXT) | instid1(VALU_DEP_1)
	v_div_fmas_f32 v26, v26, v29, v31
	v_div_fixup_f32 v24, v26, s31, v24
	s_delay_alu instid0(VALU_DEP_1) | instskip(NEXT) | instid1(VALU_DEP_1)
	v_dual_mul_f32 v26, v15, v28 :: v_dual_add_f32 v24, v24, v39
	v_div_scale_f32 v29, null, v24, v24, v26
	v_div_scale_f32 v34, vcc_lo, v26, v24, v26
	s_delay_alu instid0(VALU_DEP_2) | instskip(SKIP_1) | instid1(TRANS32_DEP_1)
	v_rcp_f32_e32 v31, v29
	v_nop
	v_fma_f32 v33, -v29, v31, 1.0
	s_delay_alu instid0(VALU_DEP_1) | instskip(NEXT) | instid1(VALU_DEP_1)
	v_fmac_f32_e32 v31, v33, v31
	v_mul_f32_e32 v33, v34, v31
	s_delay_alu instid0(VALU_DEP_1) | instskip(NEXT) | instid1(VALU_DEP_1)
	v_fma_f32 v35, -v29, v33, v34
	v_fmac_f32_e32 v33, v35, v31
	s_delay_alu instid0(VALU_DEP_1) | instskip(NEXT) | instid1(VALU_DEP_1)
	v_dual_fma_f32 v29, -v29, v33, v34 :: v_dual_fma_f32 v34, -v14, v20, v20
	v_div_fmas_f32 v29, v29, v31, v33
	s_delay_alu instid0(VALU_DEP_2) | instskip(SKIP_1) | instid1(VALU_DEP_3)
	v_cndmask_b32_e64 v20, v20, v34, s0
	v_lshl_add_u64 v[34:35], v[12:13], 2, s[6:7]
	v_div_fixup_f32 v24, v29, v24, v26
	s_delay_alu instid0(VALU_DEP_1)
	v_sub_f32_e32 v20, v20, v24
	global_store_b32 v[34:35], v20, off
.LBB2_58:                               ;   in Loop: Header=BB2_26 Depth=1
	s_wait_xcnt 0x0
	s_or_b32 exec_lo, exec_lo, s27
	s_delay_alu instid0(SALU_CYCLE_1)
	s_and_not1_b32 vcc_lo, exec_lo, s26
	s_cbranch_vccnz .LBB2_65
; %bb.59:                               ;   in Loop: Header=BB2_26 Depth=1
	s_and_saveexec_b32 s5, s1
	s_cbranch_execnz .LBB2_81
; %bb.60:                               ;   in Loop: Header=BB2_26 Depth=1
	s_or_b32 exec_lo, exec_lo, s5
	s_and_saveexec_b32 s5, s2
	s_cbranch_execnz .LBB2_82
.LBB2_61:                               ;   in Loop: Header=BB2_26 Depth=1
	s_or_b32 exec_lo, exec_lo, s5
	s_and_saveexec_b32 s5, s3
	s_cbranch_execnz .LBB2_83
.LBB2_62:                               ;   in Loop: Header=BB2_26 Depth=1
	s_or_b32 exec_lo, exec_lo, s5
	s_and_saveexec_b32 s5, s4
	s_cbranch_execz .LBB2_64
.LBB2_63:                               ;   in Loop: Header=BB2_26 Depth=1
	v_lshl_add_u64 v[16:17], v[12:13], 2, s[8:9]
	global_store_b32 v[16:17], v19, off
.LBB2_64:                               ;   in Loop: Header=BB2_26 Depth=1
	s_wait_xcnt 0x0
	s_or_b32 exec_lo, exec_lo, s5
.LBB2_65:                               ;   in Loop: Header=BB2_26 Depth=1
	s_and_saveexec_b32 s5, s1
	s_cbranch_execnz .LBB2_73
; %bb.66:                               ;   in Loop: Header=BB2_26 Depth=1
	s_or_b32 exec_lo, exec_lo, s5
	s_and_saveexec_b32 s5, s2
	s_cbranch_execnz .LBB2_74
.LBB2_67:                               ;   in Loop: Header=BB2_26 Depth=1
	s_or_b32 exec_lo, exec_lo, s5
	s_and_saveexec_b32 s5, s3
	s_cbranch_execnz .LBB2_75
.LBB2_68:                               ;   in Loop: Header=BB2_26 Depth=1
	s_or_b32 exec_lo, exec_lo, s5
	s_and_saveexec_b32 s5, s4
	s_cbranch_execnz .LBB2_76
.LBB2_69:                               ;   in Loop: Header=BB2_26 Depth=1
	s_or_b32 exec_lo, exec_lo, s5
	s_and_saveexec_b32 s5, s1
	s_cbranch_execnz .LBB2_77
.LBB2_70:                               ;   in Loop: Header=BB2_26 Depth=1
	s_or_b32 exec_lo, exec_lo, s5
	s_and_saveexec_b32 s1, s2
	s_cbranch_execnz .LBB2_78
.LBB2_71:                               ;   in Loop: Header=BB2_26 Depth=1
	s_or_b32 exec_lo, exec_lo, s1
	s_and_saveexec_b32 s1, s3
	s_cbranch_execnz .LBB2_79
.LBB2_72:                               ;   in Loop: Header=BB2_26 Depth=1
	s_or_b32 exec_lo, exec_lo, s1
	s_and_saveexec_b32 s1, s4
	s_cbranch_execz .LBB2_25
	s_branch .LBB2_80
.LBB2_73:                               ;   in Loop: Header=BB2_26 Depth=1
	v_lshl_add_u64 v[16:17], v[6:7], 2, s[10:11]
	global_store_b32 v[16:17], v25, off
	s_wait_xcnt 0x0
	s_or_b32 exec_lo, exec_lo, s5
	s_and_saveexec_b32 s5, s2
	s_cbranch_execz .LBB2_67
.LBB2_74:                               ;   in Loop: Header=BB2_26 Depth=1
	v_lshl_add_u64 v[16:17], v[8:9], 2, s[10:11]
	global_store_b32 v[16:17], v32, off
	s_wait_xcnt 0x0
	s_or_b32 exec_lo, exec_lo, s5
	s_and_saveexec_b32 s5, s3
	s_cbranch_execz .LBB2_68
.LBB2_75:                               ;   in Loop: Header=BB2_26 Depth=1
	v_lshl_add_u64 v[16:17], v[10:11], 2, s[10:11]
	global_store_b32 v[16:17], v30, off
	s_wait_xcnt 0x0
	s_or_b32 exec_lo, exec_lo, s5
	s_and_saveexec_b32 s5, s4
	s_cbranch_execz .LBB2_69
.LBB2_76:                               ;   in Loop: Header=BB2_26 Depth=1
	v_lshl_add_u64 v[16:17], v[12:13], 2, s[10:11]
	global_store_b32 v[16:17], v28, off
	s_wait_xcnt 0x0
	s_or_b32 exec_lo, exec_lo, s5
	s_and_saveexec_b32 s5, s1
	s_cbranch_execz .LBB2_70
.LBB2_77:                               ;   in Loop: Header=BB2_26 Depth=1
	v_lshl_add_u64 v[6:7], v[6:7], 2, s[14:15]
	global_store_b32 v[6:7], v22, off
	s_wait_xcnt 0x0
	s_or_b32 exec_lo, exec_lo, s5
	s_and_saveexec_b32 s1, s2
	s_cbranch_execz .LBB2_71
.LBB2_78:                               ;   in Loop: Header=BB2_26 Depth=1
	v_lshl_add_u64 v[6:7], v[8:9], 2, s[14:15]
	global_store_b32 v[6:7], v27, off
	s_wait_xcnt 0x0
	s_or_b32 exec_lo, exec_lo, s1
	s_and_saveexec_b32 s1, s3
	s_cbranch_execz .LBB2_72
.LBB2_79:                               ;   in Loop: Header=BB2_26 Depth=1
	v_lshl_add_u64 v[6:7], v[10:11], 2, s[14:15]
	global_store_b32 v[6:7], v23, off
	s_wait_xcnt 0x0
	s_or_b32 exec_lo, exec_lo, s1
	s_and_saveexec_b32 s1, s4
	s_cbranch_execz .LBB2_25
.LBB2_80:                               ;   in Loop: Header=BB2_26 Depth=1
	v_lshl_add_u64 v[6:7], v[12:13], 2, s[14:15]
	global_store_b32 v[6:7], v21, off
	s_branch .LBB2_25
.LBB2_81:                               ;   in Loop: Header=BB2_26 Depth=1
	v_lshl_add_u64 v[34:35], v[6:7], 2, s[8:9]
	global_store_b32 v[34:35], v16, off
	s_wait_xcnt 0x0
	s_or_b32 exec_lo, exec_lo, s5
	s_and_saveexec_b32 s5, s2
	s_cbranch_execz .LBB2_61
.LBB2_82:                               ;   in Loop: Header=BB2_26 Depth=1
	v_lshl_add_u64 v[34:35], v[8:9], 2, s[8:9]
	global_store_b32 v[34:35], v17, off
	s_wait_xcnt 0x0
	s_or_b32 exec_lo, exec_lo, s5
	s_and_saveexec_b32 s5, s3
	s_cbranch_execz .LBB2_62
.LBB2_83:                               ;   in Loop: Header=BB2_26 Depth=1
	v_lshl_add_u64 v[16:17], v[10:11], 2, s[8:9]
	global_store_b32 v[16:17], v18, off
	s_wait_xcnt 0x0
	s_or_b32 exec_lo, exec_lo, s5
	s_and_saveexec_b32 s5, s4
	s_cbranch_execnz .LBB2_63
	s_branch .LBB2_64
.LBB2_84:
	s_endpgm
	.section	.rodata,"a",@progbits
	.p2align	6, 0x0
	.amdhsa_kernel _ZN2at6native12_GLOBAL__N_125multi_tensor_apply_kernelINS1_32FusedOptimizerTensorListMetadataILi4EEENS1_20FusedAdamMathFunctorIfLi4ELNS0_9ADAM_MODEE1ELb0EEEJPKfdddddbS9_S9_EEEvT_T0_DpT1_
		.amdhsa_group_segment_fixed_size 0
		.amdhsa_private_segment_fixed_size 0
		.amdhsa_kernarg_size 3672
		.amdhsa_user_sgpr_count 2
		.amdhsa_user_sgpr_dispatch_ptr 0
		.amdhsa_user_sgpr_queue_ptr 0
		.amdhsa_user_sgpr_kernarg_segment_ptr 1
		.amdhsa_user_sgpr_dispatch_id 0
		.amdhsa_user_sgpr_kernarg_preload_length 0
		.amdhsa_user_sgpr_kernarg_preload_offset 0
		.amdhsa_user_sgpr_private_segment_size 0
		.amdhsa_wavefront_size32 1
		.amdhsa_uses_dynamic_stack 0
		.amdhsa_enable_private_segment 0
		.amdhsa_system_sgpr_workgroup_id_x 1
		.amdhsa_system_sgpr_workgroup_id_y 0
		.amdhsa_system_sgpr_workgroup_id_z 0
		.amdhsa_system_sgpr_workgroup_info 0
		.amdhsa_system_vgpr_workitem_id 0
		.amdhsa_next_free_vgpr 63
		.amdhsa_next_free_sgpr 36
		.amdhsa_named_barrier_count 0
		.amdhsa_reserve_vcc 1
		.amdhsa_float_round_mode_32 0
		.amdhsa_float_round_mode_16_64 0
		.amdhsa_float_denorm_mode_32 3
		.amdhsa_float_denorm_mode_16_64 3
		.amdhsa_fp16_overflow 0
		.amdhsa_memory_ordered 1
		.amdhsa_forward_progress 1
		.amdhsa_inst_pref_size 77
		.amdhsa_round_robin_scheduling 0
		.amdhsa_exception_fp_ieee_invalid_op 0
		.amdhsa_exception_fp_denorm_src 0
		.amdhsa_exception_fp_ieee_div_zero 0
		.amdhsa_exception_fp_ieee_overflow 0
		.amdhsa_exception_fp_ieee_underflow 0
		.amdhsa_exception_fp_ieee_inexact 0
		.amdhsa_exception_int_div_zero 0
	.end_amdhsa_kernel
	.section	.text._ZN2at6native12_GLOBAL__N_125multi_tensor_apply_kernelINS1_32FusedOptimizerTensorListMetadataILi4EEENS1_20FusedAdamMathFunctorIfLi4ELNS0_9ADAM_MODEE1ELb0EEEJPKfdddddbS9_S9_EEEvT_T0_DpT1_,"axG",@progbits,_ZN2at6native12_GLOBAL__N_125multi_tensor_apply_kernelINS1_32FusedOptimizerTensorListMetadataILi4EEENS1_20FusedAdamMathFunctorIfLi4ELNS0_9ADAM_MODEE1ELb0EEEJPKfdddddbS9_S9_EEEvT_T0_DpT1_,comdat
.Lfunc_end2:
	.size	_ZN2at6native12_GLOBAL__N_125multi_tensor_apply_kernelINS1_32FusedOptimizerTensorListMetadataILi4EEENS1_20FusedAdamMathFunctorIfLi4ELNS0_9ADAM_MODEE1ELb0EEEJPKfdddddbS9_S9_EEEvT_T0_DpT1_, .Lfunc_end2-_ZN2at6native12_GLOBAL__N_125multi_tensor_apply_kernelINS1_32FusedOptimizerTensorListMetadataILi4EEENS1_20FusedAdamMathFunctorIfLi4ELNS0_9ADAM_MODEE1ELb0EEEJPKfdddddbS9_S9_EEEvT_T0_DpT1_
                                        ; -- End function
	.set _ZN2at6native12_GLOBAL__N_125multi_tensor_apply_kernelINS1_32FusedOptimizerTensorListMetadataILi4EEENS1_20FusedAdamMathFunctorIfLi4ELNS0_9ADAM_MODEE1ELb0EEEJPKfdddddbS9_S9_EEEvT_T0_DpT1_.num_vgpr, 63
	.set _ZN2at6native12_GLOBAL__N_125multi_tensor_apply_kernelINS1_32FusedOptimizerTensorListMetadataILi4EEENS1_20FusedAdamMathFunctorIfLi4ELNS0_9ADAM_MODEE1ELb0EEEJPKfdddddbS9_S9_EEEvT_T0_DpT1_.num_agpr, 0
	.set _ZN2at6native12_GLOBAL__N_125multi_tensor_apply_kernelINS1_32FusedOptimizerTensorListMetadataILi4EEENS1_20FusedAdamMathFunctorIfLi4ELNS0_9ADAM_MODEE1ELb0EEEJPKfdddddbS9_S9_EEEvT_T0_DpT1_.numbered_sgpr, 36
	.set _ZN2at6native12_GLOBAL__N_125multi_tensor_apply_kernelINS1_32FusedOptimizerTensorListMetadataILi4EEENS1_20FusedAdamMathFunctorIfLi4ELNS0_9ADAM_MODEE1ELb0EEEJPKfdddddbS9_S9_EEEvT_T0_DpT1_.num_named_barrier, 0
	.set _ZN2at6native12_GLOBAL__N_125multi_tensor_apply_kernelINS1_32FusedOptimizerTensorListMetadataILi4EEENS1_20FusedAdamMathFunctorIfLi4ELNS0_9ADAM_MODEE1ELb0EEEJPKfdddddbS9_S9_EEEvT_T0_DpT1_.private_seg_size, 0
	.set _ZN2at6native12_GLOBAL__N_125multi_tensor_apply_kernelINS1_32FusedOptimizerTensorListMetadataILi4EEENS1_20FusedAdamMathFunctorIfLi4ELNS0_9ADAM_MODEE1ELb0EEEJPKfdddddbS9_S9_EEEvT_T0_DpT1_.uses_vcc, 1
	.set _ZN2at6native12_GLOBAL__N_125multi_tensor_apply_kernelINS1_32FusedOptimizerTensorListMetadataILi4EEENS1_20FusedAdamMathFunctorIfLi4ELNS0_9ADAM_MODEE1ELb0EEEJPKfdddddbS9_S9_EEEvT_T0_DpT1_.uses_flat_scratch, 0
	.set _ZN2at6native12_GLOBAL__N_125multi_tensor_apply_kernelINS1_32FusedOptimizerTensorListMetadataILi4EEENS1_20FusedAdamMathFunctorIfLi4ELNS0_9ADAM_MODEE1ELb0EEEJPKfdddddbS9_S9_EEEvT_T0_DpT1_.has_dyn_sized_stack, 0
	.set _ZN2at6native12_GLOBAL__N_125multi_tensor_apply_kernelINS1_32FusedOptimizerTensorListMetadataILi4EEENS1_20FusedAdamMathFunctorIfLi4ELNS0_9ADAM_MODEE1ELb0EEEJPKfdddddbS9_S9_EEEvT_T0_DpT1_.has_recursion, 0
	.set _ZN2at6native12_GLOBAL__N_125multi_tensor_apply_kernelINS1_32FusedOptimizerTensorListMetadataILi4EEENS1_20FusedAdamMathFunctorIfLi4ELNS0_9ADAM_MODEE1ELb0EEEJPKfdddddbS9_S9_EEEvT_T0_DpT1_.has_indirect_call, 0
	.section	.AMDGPU.csdata,"",@progbits
; Kernel info:
; codeLenInByte = 9796
; TotalNumSgprs: 38
; NumVgprs: 63
; ScratchSize: 0
; MemoryBound: 0
; FloatMode: 240
; IeeeMode: 1
; LDSByteSize: 0 bytes/workgroup (compile time only)
; SGPRBlocks: 0
; VGPRBlocks: 3
; NumSGPRsForWavesPerEU: 38
; NumVGPRsForWavesPerEU: 63
; NamedBarCnt: 0
; Occupancy: 16
; WaveLimiterHint : 0
; COMPUTE_PGM_RSRC2:SCRATCH_EN: 0
; COMPUTE_PGM_RSRC2:USER_SGPR: 2
; COMPUTE_PGM_RSRC2:TRAP_HANDLER: 0
; COMPUTE_PGM_RSRC2:TGID_X_EN: 1
; COMPUTE_PGM_RSRC2:TGID_Y_EN: 0
; COMPUTE_PGM_RSRC2:TGID_Z_EN: 0
; COMPUTE_PGM_RSRC2:TIDIG_COMP_CNT: 0
	.section	.text._ZN2at6native12_GLOBAL__N_125multi_tensor_apply_kernelINS1_32FusedOptimizerTensorListMetadataILi4EEENS1_20FusedAdamMathFunctorIN3c104HalfELi4ELNS0_9ADAM_MODEE1ELb0EEEJPKfdddddbSB_SB_EEEvT_T0_DpT1_,"axG",@progbits,_ZN2at6native12_GLOBAL__N_125multi_tensor_apply_kernelINS1_32FusedOptimizerTensorListMetadataILi4EEENS1_20FusedAdamMathFunctorIN3c104HalfELi4ELNS0_9ADAM_MODEE1ELb0EEEJPKfdddddbSB_SB_EEEvT_T0_DpT1_,comdat
	.globl	_ZN2at6native12_GLOBAL__N_125multi_tensor_apply_kernelINS1_32FusedOptimizerTensorListMetadataILi4EEENS1_20FusedAdamMathFunctorIN3c104HalfELi4ELNS0_9ADAM_MODEE1ELb0EEEJPKfdddddbSB_SB_EEEvT_T0_DpT1_ ; -- Begin function _ZN2at6native12_GLOBAL__N_125multi_tensor_apply_kernelINS1_32FusedOptimizerTensorListMetadataILi4EEENS1_20FusedAdamMathFunctorIN3c104HalfELi4ELNS0_9ADAM_MODEE1ELb0EEEJPKfdddddbSB_SB_EEEvT_T0_DpT1_
	.p2align	8
	.type	_ZN2at6native12_GLOBAL__N_125multi_tensor_apply_kernelINS1_32FusedOptimizerTensorListMetadataILi4EEENS1_20FusedAdamMathFunctorIN3c104HalfELi4ELNS0_9ADAM_MODEE1ELb0EEEJPKfdddddbSB_SB_EEEvT_T0_DpT1_,@function
_ZN2at6native12_GLOBAL__N_125multi_tensor_apply_kernelINS1_32FusedOptimizerTensorListMetadataILi4EEENS1_20FusedAdamMathFunctorIN3c104HalfELi4ELNS0_9ADAM_MODEE1ELb0EEEJPKfdddddbSB_SB_EEEvT_T0_DpT1_: ; @_ZN2at6native12_GLOBAL__N_125multi_tensor_apply_kernelINS1_32FusedOptimizerTensorListMetadataILi4EEENS1_20FusedAdamMathFunctorIN3c104HalfELi4ELNS0_9ADAM_MODEE1ELb0EEEJPKfdddddbSB_SB_EEEvT_T0_DpT1_
; %bb.0:
	s_bfe_u32 s2, ttmp6, 0x4000c
	s_and_b32 s3, ttmp6, 15
	s_add_co_i32 s2, s2, 1
	s_getreg_b32 s4, hwreg(HW_REG_IB_STS2, 6, 4)
	s_mul_i32 s2, ttmp9, s2
	s_delay_alu instid0(SALU_CYCLE_1)
	s_add_co_i32 s3, s3, s2
	s_cmp_eq_u32 s4, 0
	s_cselect_b32 s2, ttmp9, s3
	s_mov_b32 s3, 0
	v_mov_b32_e32 v1, s2
	global_load_u8 v1, v1, s[0:1] offset:1728
	s_clause 0x1
	s_load_b256 s[4:11], s[0:1], 0xd10
	s_load_b128 s[16:19], s[0:1], 0xd30
	s_wait_kmcnt 0x0
	s_cmp_eq_u64 s[4:5], 0
	s_wait_loadcnt 0x0
	v_readfirstlane_b32 s20, v1
	s_cbranch_scc1 .LBB3_20
; %bb.1:
	s_load_b32 s4, s[4:5], 0x0
	s_wait_xcnt 0x0
	s_wait_kmcnt 0x0
	v_mov_b32_e32 v45, s4
	s_cbranch_execnz .LBB3_3
.LBB3_2:
	v_cvt_f32_f64_e32 v45, s[6:7]
.LBB3_3:
	s_load_b128 s[12:15], s[0:1], 0xd48
	s_wait_kmcnt 0x0
	s_cmp_eq_u64 s[14:15], 0
	s_cselect_b32 s4, -1, 0
	s_delay_alu instid0(SALU_CYCLE_1)
	s_and_b32 vcc_lo, exec_lo, s4
	s_cbranch_vccnz .LBB3_5
; %bb.4:
	s_load_b32 s4, s[14:15], 0x0
	s_wait_kmcnt 0x0
	s_cmp_neq_f32 s4, 1.0
	s_cselect_b32 s4, -1, 0
.LBB3_5:
	s_delay_alu instid0(SALU_CYCLE_1)
	s_and_not1_b32 vcc_lo, exec_lo, s4
	s_cbranch_vccnz .LBB3_84
; %bb.6:
	v_cvt_f32_f64_e32 v44, s[10:11]
	s_and_b32 s6, s20, 0xff
	s_clause 0x2
	s_load_b64 s[4:5], s[0:1], s6 offset:0x5a0 scale_offset
	s_load_b32 s7, s[0:1], 0xd40
	s_load_b64 s[28:29], s[0:1], s6 offset:0x480 scale_offset
	v_cvt_f32_f64_e32 v46, s[8:9]
	v_cvt_f32_f64_e32 v48, s[16:17]
	;; [unrolled: 1-line block ×3, first 2 shown]
	s_wait_kmcnt 0x0
	s_load_b32 s10, s[4:5], 0x0
	s_wait_xcnt 0x0
	s_delay_alu instid0(VALU_DEP_4) | instskip(SKIP_3) | instid1(SALU_CYCLE_1)
	v_readfirstlane_b32 s5, v44
	s_cmp_neq_f32 s5, 1.0
	s_wait_kmcnt 0x0
	s_cselect_b32 s4, s10, 1.0
	s_cmp_neq_f32 s4, 0
	s_cselect_b32 s5, s5, 1.0
	s_delay_alu instid0(SALU_CYCLE_1) | instskip(NEXT) | instid1(VALU_DEP_1)
	v_cvt_f64_f32_e64 v[2:3], |s5|
	v_frexp_exp_i32_f64_e32 v1, v[2:3]
	v_frexp_mant_f32_e64 v2, |s5|
	s_delay_alu instid0(VALU_DEP_1) | instskip(SKIP_2) | instid1(SALU_CYCLE_1)
	v_readfirstlane_b32 s11, v2
	s_cmp_lt_f32 s11, 0x3f2aaaab
	s_cselect_b32 vcc_lo, -1, 0
	s_and_b32 s14, vcc_lo, exec_lo
	s_cselect_b32 s14, 2.0, 1.0
	s_delay_alu instid0(SALU_CYCLE_1) | instskip(NEXT) | instid1(SALU_CYCLE_3)
	s_mul_f32 s11, s11, s14
	s_add_f32 s14, s11, 1.0
	s_add_f32 s20, s11, -1.0
	s_delay_alu instid0(SALU_CYCLE_2) | instskip(SKIP_2) | instid1(SALU_CYCLE_2)
	v_s_rcp_f32 s15, s14
	s_add_f32 s23, s14, -1.0
	v_subrev_co_ci_u32_e64 v1, null, 0, v1, vcc_lo
	s_sub_f32 s11, s11, s23
	s_delay_alu instid0(TRANS32_DEP_1) | instskip(SKIP_1) | instid1(SALU_CYCLE_2)
	s_mul_f32 s21, s20, s15
	v_cvt_f32_i32_e32 v1, v1
	s_mul_f32 s22, s14, s21
	s_delay_alu instid0(SALU_CYCLE_3) | instskip(SKIP_1) | instid1(SALU_CYCLE_1)
	v_dual_mov_b32 v3, s20 :: v_dual_mov_b32 v4, s22
	s_xor_b32 s24, s22, 0x80000000
	s_fmac_f32 s24, s21, s14
	s_delay_alu instid0(SALU_CYCLE_3) | instskip(NEXT) | instid1(SALU_CYCLE_3)
	s_fmac_f32 s24, s21, s11
	s_add_f32 s11, s22, s24
	s_delay_alu instid0(SALU_CYCLE_3) | instskip(SKIP_1) | instid1(SALU_CYCLE_3)
	v_dual_mov_b32 v6, s24 :: v_dual_mov_b32 v7, s11
	s_sub_f32 s14, s20, s11
	v_dual_mov_b32 v2, s11 :: v_dual_mov_b32 v5, s14
	s_delay_alu instid0(VALU_DEP_1) | instskip(NEXT) | instid1(VALU_DEP_1)
	v_pk_add_f32 v[2:3], v[2:3], v[4:5] neg_lo:[0,1] neg_hi:[0,1]
	v_pk_add_f32 v[2:3], v[2:3], v[6:7] neg_lo:[0,1] neg_hi:[0,1]
	s_delay_alu instid0(VALU_DEP_1) | instskip(NEXT) | instid1(VALU_DEP_2)
	v_readfirstlane_b32 s11, v3
	v_readfirstlane_b32 s20, v2
	s_add_f32 s11, s20, s11
	s_delay_alu instid0(SALU_CYCLE_3) | instskip(NEXT) | instid1(SALU_CYCLE_3)
	s_add_f32 s11, s14, s11
	s_mul_f32 s11, s15, s11
	s_delay_alu instid0(SALU_CYCLE_3) | instskip(NEXT) | instid1(SALU_CYCLE_3)
	s_add_f32 s14, s21, s11
	s_sub_f32 s15, s14, s21
	s_mul_f32 s21, s14, s14
	s_delay_alu instid0(SALU_CYCLE_2) | instskip(NEXT) | instid1(SALU_CYCLE_2)
	s_sub_f32 s22, s11, s15
	s_xor_b32 s15, s21, 0x80000000
	s_delay_alu instid0(SALU_CYCLE_1) | instskip(NEXT) | instid1(SALU_CYCLE_1)
	s_fmac_f32 s15, s14, s14
	s_add_f32 s11, s22, s22
	s_delay_alu instid0(SALU_CYCLE_3) | instskip(SKIP_1) | instid1(SALU_CYCLE_2)
	s_fmac_f32 s15, s14, s11
	s_mov_b32 s11, 0x3e76c4e1
	s_add_f32 s20, s21, s15
	s_delay_alu instid0(SALU_CYCLE_3) | instskip(SKIP_1) | instid1(SALU_CYCLE_2)
	s_fmaak_f32 s23, s20, s11, 0x3e91f4c4
	s_sub_f32 s21, s20, s21
	s_fmaak_f32 s23, s20, s23, 0x3ecccdef
	s_delay_alu instid0(SALU_CYCLE_2) | instskip(NEXT) | instid1(SALU_CYCLE_2)
	s_sub_f32 s26, s15, s21
	s_mul_f32 s24, s20, s23
	s_delay_alu instid0(SALU_CYCLE_3) | instskip(NEXT) | instid1(SALU_CYCLE_1)
	s_xor_b32 s25, s24, 0x80000000
	s_fmac_f32 s25, s20, s23
	s_delay_alu instid0(SALU_CYCLE_3) | instskip(NEXT) | instid1(SALU_CYCLE_3)
	s_fmac_f32 s25, s26, s23
	s_add_f32 s21, s24, s25
	s_delay_alu instid0(SALU_CYCLE_3) | instskip(SKIP_1) | instid1(SALU_CYCLE_2)
	s_sub_f32 s15, s21, s24
	s_add_f32 s23, s21, 0x3f2aaaaa
	s_sub_f32 s15, s25, s15
	s_delay_alu instid0(SALU_CYCLE_2) | instskip(NEXT) | instid1(SALU_CYCLE_2)
	s_add_f32 s24, s23, 0xbf2aaaaa
	s_add_f32 s15, s15, 0x31739010
	s_delay_alu instid0(SALU_CYCLE_2) | instskip(NEXT) | instid1(SALU_CYCLE_2)
	s_sub_f32 s21, s21, s24
	v_mov_b64_e32 v[2:3], s[14:15]
	s_delay_alu instid0(SALU_CYCLE_2) | instskip(NEXT) | instid1(VALU_DEP_1)
	v_mov_b64_e32 v[4:5], s[20:21]
	v_pk_mul_f32 v[6:7], v[2:3], v[4:5]
	v_pk_add_f32 v[2:3], v[2:3], v[4:5]
	v_mov_b32_e32 v9, s23
	s_delay_alu instid0(VALU_DEP_3) | instskip(NEXT) | instid1(VALU_DEP_3)
	v_xor_b32_e32 v8, 0x80000000, v6
	v_mov_b32_e32 v7, v3
	s_delay_alu instid0(VALU_DEP_2) | instskip(NEXT) | instid1(VALU_DEP_1)
	v_fmac_f32_e64 v8, s20, s14
	v_fmac_f32_e64 v8, s20, s22
	s_delay_alu instid0(VALU_DEP_1) | instskip(NEXT) | instid1(VALU_DEP_1)
	v_fmac_f32_e64 v8, s26, s14
	v_pk_add_f32 v[4:5], v[6:7], v[8:9]
	s_delay_alu instid0(VALU_DEP_1) | instskip(NEXT) | instid1(VALU_DEP_2)
	v_dual_mul_f32 v12, 0x3f317218, v1 :: v_dual_sub_f32 v9, v4, v6
	v_dual_mov_b32 v2, v5 :: v_dual_sub_f32 v7, s23, v5
	s_delay_alu instid0(VALU_DEP_2) | instskip(NEXT) | instid1(VALU_DEP_2)
	v_xor_b32_e32 v6, 0x80000000, v12
	v_pk_mul_f32 v[10:11], v[4:5], v[2:3]
	s_delay_alu instid0(VALU_DEP_2) | instskip(NEXT) | instid1(VALU_DEP_2)
	v_fmac_f32_e32 v6, 0x3f317218, v1
	v_xor_b32_e32 v2, 0x80000000, v10
	v_dual_add_f32 v3, v3, v7 :: v_dual_sub_f32 v7, v8, v9
	s_delay_alu instid0(VALU_DEP_2) | instskip(NEXT) | instid1(VALU_DEP_1)
	v_fmac_f32_e32 v2, v4, v5
	v_fmac_f32_e32 v2, v4, v3
	s_delay_alu instid0(VALU_DEP_1) | instskip(SKIP_1) | instid1(VALU_DEP_2)
	v_fmac_f32_e32 v2, v7, v5
	v_ldexp_f32 v7, s14, 1
	v_dual_add_f32 v13, v10, v2 :: v_dual_fmac_f32 v6, 0xb102e308, v1
	s_delay_alu instid0(VALU_DEP_2) | instskip(SKIP_1) | instid1(VALU_DEP_3)
	v_mov_b32_e32 v11, v7
	v_ldexp_f32 v1, s22, 1
	v_mov_b32_e32 v3, v13
	s_delay_alu instid0(VALU_DEP_4) | instskip(NEXT) | instid1(VALU_DEP_1)
	v_pk_add_f32 v[4:5], v[12:13], v[6:7]
	v_dual_mov_b32 v8, v13 :: v_dual_mov_b32 v9, v5
	s_delay_alu instid0(VALU_DEP_2) | instskip(NEXT) | instid1(VALU_DEP_2)
	v_dual_mov_b32 v7, v4 :: v_dual_mov_b32 v14, v5
	v_pk_add_f32 v[8:9], v[8:9], v[10:11] neg_lo:[0,1] neg_hi:[0,1]
	s_delay_alu instid0(VALU_DEP_1) | instskip(NEXT) | instid1(VALU_DEP_1)
	v_pk_add_f32 v[2:3], v[2:3], v[8:9] neg_lo:[0,1] neg_hi:[0,1]
	v_add_f32_e32 v1, v1, v2
	s_delay_alu instid0(VALU_DEP_1) | instskip(NEXT) | instid1(VALU_DEP_1)
	v_add_f32_e32 v13, v1, v3
	v_pk_add_f32 v[2:3], v[4:5], v[12:13]
	v_pk_add_f32 v[8:9], v[4:5], v[12:13] neg_lo:[0,1] neg_hi:[0,1]
	s_delay_alu instid0(VALU_DEP_2) | instskip(NEXT) | instid1(VALU_DEP_1)
	v_mov_b32_e32 v9, v3
	v_pk_add_f32 v[10:11], v[6:7], v[8:9]
	v_pk_add_f32 v[6:7], v[6:7], v[8:9] neg_lo:[0,1] neg_hi:[0,1]
	s_delay_alu instid0(VALU_DEP_2) | instskip(SKIP_1) | instid1(VALU_DEP_3)
	v_dual_mov_b32 v16, v3 :: v_dual_mov_b32 v17, v11
	v_mov_b32_e32 v12, v11
	v_readfirstlane_b32 s14, v6
	s_delay_alu instid0(VALU_DEP_2) | instskip(SKIP_1) | instid1(VALU_DEP_2)
	v_pk_add_f32 v[8:9], v[12:13], v[4:5] neg_lo:[0,1] neg_hi:[0,1]
	v_dual_mov_b32 v5, v4 :: v_dual_mov_b32 v4, v13
	v_dual_mov_b32 v10, s14 :: v_dual_mov_b32 v15, v8
	v_mov_b32_e32 v1, v8
	s_delay_alu instid0(VALU_DEP_2) | instskip(NEXT) | instid1(VALU_DEP_2)
	v_pk_add_f32 v[6:7], v[16:17], v[14:15] neg_lo:[0,1] neg_hi:[0,1]
	v_pk_add_f32 v[2:3], v[2:3], v[0:1] neg_lo:[0,1] neg_hi:[0,1]
	v_mov_b32_e32 v2, s14
	s_delay_alu instid0(VALU_DEP_3) | instskip(NEXT) | instid1(VALU_DEP_1)
	v_pk_add_f32 v[4:5], v[4:5], v[6:7] neg_lo:[0,1] neg_hi:[0,1]
	v_pk_add_f32 v[2:3], v[2:3], v[4:5]
	s_delay_alu instid0(VALU_DEP_1) | instskip(NEXT) | instid1(VALU_DEP_2)
	v_readfirstlane_b32 s15, v2
	v_mov_b32_e32 v6, v3
	s_delay_alu instid0(VALU_DEP_1) | instskip(NEXT) | instid1(VALU_DEP_3)
	v_pk_add_f32 v[6:7], v[2:3], v[6:7]
	v_mov_b32_e32 v2, s15
	s_delay_alu instid0(VALU_DEP_2) | instskip(SKIP_1) | instid1(VALU_DEP_2)
	v_pk_add_f32 v[8:9], v[12:13], v[6:7]
	v_mov_b32_e32 v5, v6
	v_readfirstlane_b32 s20, v8
	s_delay_alu instid0(VALU_DEP_1) | instskip(NEXT) | instid1(VALU_DEP_1)
	v_mov_b32_e32 v3, s20
	v_pk_add_f32 v[2:3], v[2:3], v[10:11] neg_lo:[0,1] neg_hi:[0,1]
	s_delay_alu instid0(VALU_DEP_1) | instskip(NEXT) | instid1(VALU_DEP_2)
	v_readfirstlane_b32 s21, v2
	v_pk_add_f32 v[2:3], v[4:5], v[2:3] neg_lo:[0,1] neg_hi:[0,1]
	s_sub_f32 s15, s15, s21
	s_delay_alu instid0(VALU_DEP_1) | instskip(NEXT) | instid1(SALU_CYCLE_2)
	v_readfirstlane_b32 s21, v2
	s_sub_f32 s14, s14, s15
	v_readfirstlane_b32 s15, v3
	s_delay_alu instid0(SALU_CYCLE_2) | instskip(NEXT) | instid1(SALU_CYCLE_3)
	s_add_f32 s14, s21, s14
	s_add_f32 s14, s14, s15
	s_delay_alu instid0(SALU_CYCLE_3) | instskip(NEXT) | instid1(SALU_CYCLE_3)
	s_add_f32 s15, s20, s14
	s_mul_f32 s21, s4, s15
	s_sub_f32 s20, s15, s20
	s_delay_alu instid0(SALU_CYCLE_2) | instskip(NEXT) | instid1(SALU_CYCLE_2)
	s_xor_b32 s22, s21, 0x80000000
	s_sub_f32 s14, s14, s20
	s_fmac_f32 s22, s4, s15
	s_delay_alu instid0(SALU_CYCLE_3) | instskip(SKIP_1) | instid1(SALU_CYCLE_2)
	s_fmac_f32 s22, s4, s14
	v_cmp_class_f32_e64 s14, s21, 0x204
	s_add_f32 s15, s21, s22
	s_and_b32 s14, s14, exec_lo
	s_delay_alu instid0(SALU_CYCLE_2) | instskip(SKIP_1) | instid1(SALU_CYCLE_1)
	s_sub_f32 s14, s15, s21
	s_cselect_b32 s15, s21, s15
	s_and_b32 s20, s15, 0x7fffffff
	s_delay_alu instid0(SALU_CYCLE_1) | instskip(SKIP_1) | instid1(SALU_CYCLE_2)
	s_sub_f32 s14, s22, s14
	s_cmp_neq_f32 s20, 0x7f800000
	s_cselect_b32 s14, s14, 0
	s_cmp_eq_f32 s15, 0x42b17218
	s_cselect_b32 s20, 0x37000000, 0
	s_delay_alu instid0(SALU_CYCLE_1) | instskip(SKIP_1) | instid1(SALU_CYCLE_2)
	s_sub_f32 s15, s15, s20
	s_add_f32 s14, s20, s14
	s_mul_f32 s21, s15, 0x3fb8aa3b
	s_delay_alu instid0(SALU_CYCLE_3) | instskip(SKIP_3) | instid1(SALU_CYCLE_1)
	s_xor_b32 s22, s21, 0x80000000
	s_rndne_f32 s23, s21
	s_fmamk_f32 s22, s15, 0x3fb8aa3b, s22
	s_cmp_nlt_f32 s15, 0xc2ce8ed0
	s_sub_f32 s21, s21, s23
	s_delay_alu instid0(SALU_CYCLE_1)
	s_fmamk_f32 s22, s15, 0x32a5705f, s22
	s_cselect_b32 vcc_lo, -1, 0
	s_cmp_ngt_f32 s15, 0x42b17218
	s_trunc_f32 s15, s4
	s_add_f32 s21, s21, s22
	s_cvt_i32_f32 s22, s23
	s_delay_alu instid0(SALU_CYCLE_2)
	v_s_exp_f32 s21, s21
	v_nop
	s_delay_alu instid0(TRANS32_DEP_1) | instid1(SALU_CYCLE_1)
	v_ldexp_f32 v1, s21, s22
	s_mul_f32 s21, s4, 0.5
	s_delay_alu instid0(VALU_DEP_1) | instskip(SKIP_3) | instid1(VALU_DEP_1)
	v_cndmask_b32_e32 v1, 0, v1, vcc_lo
	s_cselect_b32 vcc_lo, -1, 0
	s_cmp_eq_f32 s15, s4
	s_trunc_f32 s22, s21
	v_cndmask_b32_e32 v1, 0x7f800000, v1, vcc_lo
	s_cselect_b32 s20, -1, 0
	s_delay_alu instid0(SALU_CYCLE_1) | instskip(NEXT) | instid1(VALU_DEP_1)
	s_cmp_neq_f32 s22, s21
	v_fma_f32 v2, s14, v1, v1
	v_cmp_class_f32_e64 vcc_lo, v1, 0x204
	s_cselect_b32 s14, -1, 0
	s_delay_alu instid0(SALU_CYCLE_1) | instskip(SKIP_4) | instid1(VALU_DEP_1)
	s_and_b32 s14, s20, s14
	v_cndmask_b32_e32 v1, v2, v1, vcc_lo
	s_and_b32 s20, s14, exec_lo
	s_cselect_b32 s20, s5, 1.0
	s_cmp_eq_f32 s15, s4
	v_bfi_b32 v1, 0x7fffffff, v1, s20
	s_cselect_b32 s20, -1, 0
	s_delay_alu instid0(SALU_CYCLE_1) | instskip(NEXT) | instid1(VALU_DEP_1)
	s_and_b32 s20, s20, exec_lo
	v_readfirstlane_b32 s15, v1
	s_cselect_b32 s20, s15, 0x7fc00000
	s_and_b32 s21, s5, 0x7fffffff
	s_cmp_lt_f32 s5, 0
	s_cselect_b32 s15, s20, s15
	s_and_b32 s20, s4, 0x7fffffff
	s_delay_alu instid0(SALU_CYCLE_1) | instskip(SKIP_3) | instid1(SALU_CYCLE_1)
	s_cmp_neq_f32 s4, s20
	s_cselect_b32 s20, -1, 0
	s_cmp_lt_f32 s21, 1.0
	s_cselect_b32 s22, -1, 0
	s_xor_b32 s20, s20, s22
	v_cmp_class_f32_e64 s22, s4, 0x204
	s_and_b32 s20, s20, exec_lo
	s_cselect_b32 s20, 0, 0x7f800000
	s_cmp_neq_f32 s21, 1.0
	s_cselect_b32 s20, s20, 1.0
	s_and_b32 s21, s22, exec_lo
	s_cselect_b32 s15, s20, s15
	s_cmp_eq_f32 s5, 0
	v_cmp_class_f32_e64 s20, s5, 0x204
	s_cselect_b32 s21, -1, 0
	s_delay_alu instid0(SALU_CYCLE_1) | instskip(SKIP_2) | instid1(SALU_CYCLE_1)
	s_or_b32 s20, s21, s20
	s_cmp_lt_f32 s4, 0
	s_cselect_b32 s22, -1, 0
	s_xor_b32 s21, s22, s21
	s_delay_alu instid0(SALU_CYCLE_1)
	s_and_b32 s21, s21, exec_lo
	s_cselect_b32 s21, 0, 0x7f800000
	s_and_b32 s14, s14, exec_lo
	s_cselect_b32 s14, s5, 0
	s_and_b32 s20, s20, exec_lo
	v_mov_b32_e32 v1, s14
	s_delay_alu instid0(VALU_DEP_1) | instskip(NEXT) | instid1(VALU_DEP_1)
	v_bfi_b32 v1, 0x7fffffff, s21, v1
	v_readfirstlane_b32 s14, v1
	s_cselect_b32 s14, s14, s15
	s_cmp_o_f32 s5, s4
	s_sub_f32 s4, 1.0, s14
	s_delay_alu instid0(SALU_CYCLE_3) | instskip(NEXT) | instid1(SALU_CYCLE_1)
	s_cselect_b32 s5, s4, 0x7fc00000
	s_mul_f32 s4, s5, 0x4f800000
	s_cmp_lt_f32 s5, 0xf800000
	s_delay_alu instid0(SALU_CYCLE_2) | instskip(NEXT) | instid1(SALU_CYCLE_1)
	s_cselect_b32 s4, s4, s5
	v_s_sqrt_f32 s8, s4
	s_mov_b32 s14, s4
	s_delay_alu instid0(TRANS32_DEP_1) | instskip(NEXT) | instid1(SALU_CYCLE_1)
	s_add_co_i32 s9, s8, -1
	s_xor_b32 s15, s9, 0x80000000
	s_delay_alu instid0(SALU_CYCLE_1) | instskip(SKIP_1) | instid1(SALU_CYCLE_2)
	s_fmac_f32 s14, s15, s8
	s_mov_b32 s15, s4
	s_cmp_le_f32 s14, 0
	s_cselect_b32 s9, s9, s8
	s_add_co_i32 s14, s8, 1
	s_delay_alu instid0(SALU_CYCLE_1) | instskip(NEXT) | instid1(SALU_CYCLE_1)
	s_xor_b32 s20, s14, 0x80000000
	s_fmac_f32 s15, s20, s8
	s_delay_alu instid0(SALU_CYCLE_3) | instskip(SKIP_4) | instid1(SALU_CYCLE_3)
	s_cmp_gt_f32 s15, 0
	v_readfirstlane_b32 s15, v46
	s_cselect_b32 s8, s14, s9
	s_cmp_lt_f32 s5, 0xf800000
	s_mul_f32 s5, s8, 0x37800000
	s_cselect_b32 s5, s5, s8
	s_cmp_neq_f32 s15, 1.0
	s_cselect_b32 s8, s10, 1.0
	s_delay_alu instid0(SALU_CYCLE_1) | instskip(SKIP_1) | instid1(SALU_CYCLE_1)
	s_cmp_neq_f32 s8, 0
	s_cselect_b32 s9, s15, 1.0
	v_cvt_f64_f32_e64 v[2:3], |s9|
	s_delay_alu instid0(VALU_DEP_1) | instskip(SKIP_1) | instid1(VALU_DEP_1)
	v_frexp_exp_i32_f64_e32 v1, v[2:3]
	v_frexp_mant_f32_e64 v2, |s9|
	v_readfirstlane_b32 s10, v2
	s_cmp_lt_f32 s10, 0x3f2aaaab
	s_cselect_b32 vcc_lo, -1, 0
	s_delay_alu instid0(SALU_CYCLE_1) | instskip(SKIP_1) | instid1(SALU_CYCLE_1)
	s_and_b32 s14, vcc_lo, exec_lo
	s_cselect_b32 s14, 2.0, 1.0
	s_mul_f32 s10, s10, s14
	s_delay_alu instid0(SALU_CYCLE_3) | instskip(SKIP_1) | instid1(SALU_CYCLE_2)
	s_add_f32 s14, s10, 1.0
	s_add_f32 s20, s10, -1.0
	v_s_rcp_f32 s15, s14
	s_add_f32 s23, s14, -1.0
	s_delay_alu instid0(SALU_CYCLE_1) | instskip(SKIP_1) | instid1(SALU_CYCLE_1)
	v_mov_b32_e32 v3, s20
	v_subrev_co_ci_u32_e64 v1, null, 0, v1, vcc_lo
	s_sub_f32 s10, s10, s23
	s_delay_alu instid0(TRANS32_DEP_1) | instskip(SKIP_1) | instid1(SALU_CYCLE_2)
	s_mul_f32 s21, s20, s15
	v_cvt_f32_i32_e32 v1, v1
	s_mul_f32 s22, s14, s21
	s_delay_alu instid0(SALU_CYCLE_3) | instskip(SKIP_2) | instid1(SALU_CYCLE_3)
	s_xor_b32 s24, s22, 0x80000000
	v_mov_b32_e32 v4, s22
	s_fmac_f32 s24, s21, s14
	s_fmac_f32 s24, s21, s10
	s_delay_alu instid0(SALU_CYCLE_3) | instskip(NEXT) | instid1(SALU_CYCLE_3)
	s_add_f32 s10, s22, s24
	v_dual_mov_b32 v6, s24 :: v_dual_mov_b32 v7, s10
	s_sub_f32 s14, s20, s10
	s_delay_alu instid0(SALU_CYCLE_3) | instskip(NEXT) | instid1(VALU_DEP_1)
	v_dual_mov_b32 v2, s10 :: v_dual_mov_b32 v5, s14
	v_pk_add_f32 v[2:3], v[2:3], v[4:5] neg_lo:[0,1] neg_hi:[0,1]
	s_delay_alu instid0(VALU_DEP_1) | instskip(NEXT) | instid1(VALU_DEP_1)
	v_pk_add_f32 v[2:3], v[2:3], v[6:7] neg_lo:[0,1] neg_hi:[0,1]
	v_readfirstlane_b32 s10, v3
	s_delay_alu instid0(VALU_DEP_2) | instskip(SKIP_1) | instid1(SALU_CYCLE_3)
	v_readfirstlane_b32 s20, v2
	s_add_f32 s10, s20, s10
	s_add_f32 s10, s14, s10
	s_delay_alu instid0(SALU_CYCLE_3) | instskip(NEXT) | instid1(SALU_CYCLE_3)
	s_mul_f32 s14, s15, s10
	s_add_f32 s10, s21, s14
	s_delay_alu instid0(SALU_CYCLE_3) | instskip(SKIP_1) | instid1(SALU_CYCLE_2)
	s_sub_f32 s15, s10, s21
	s_mul_f32 s20, s10, s10
	s_sub_f32 s21, s14, s15
	s_delay_alu instid0(SALU_CYCLE_2) | instskip(NEXT) | instid1(SALU_CYCLE_1)
	s_xor_b32 s15, s20, 0x80000000
	s_fmac_f32 s15, s10, s10
	s_delay_alu instid0(SALU_CYCLE_1) | instskip(NEXT) | instid1(SALU_CYCLE_3)
	s_add_f32 s14, s21, s21
	s_fmac_f32 s15, s10, s14
	s_delay_alu instid0(SALU_CYCLE_3) | instskip(NEXT) | instid1(SALU_CYCLE_3)
	s_add_f32 s14, s20, s15
	s_fmaak_f32 s11, s14, s11, 0x3e91f4c4
	s_sub_f32 s20, s14, s20
	s_delay_alu instid0(SALU_CYCLE_2) | instskip(NEXT) | instid1(SALU_CYCLE_2)
	s_fmaak_f32 s11, s14, s11, 0x3ecccdef
	s_sub_f32 s20, s15, s20
	s_delay_alu instid0(SALU_CYCLE_2) | instskip(NEXT) | instid1(SALU_CYCLE_3)
	s_mul_f32 s22, s14, s11
	s_xor_b32 s23, s22, 0x80000000
	s_delay_alu instid0(SALU_CYCLE_1) | instskip(NEXT) | instid1(SALU_CYCLE_3)
	s_fmac_f32 s23, s14, s11
	s_fmac_f32 s23, s20, s11
	s_delay_alu instid0(SALU_CYCLE_3) | instskip(NEXT) | instid1(SALU_CYCLE_3)
	s_add_f32 s15, s22, s23
	s_sub_f32 s11, s15, s22
	s_add_f32 s22, s15, 0x3f2aaaaa
	s_delay_alu instid0(SALU_CYCLE_2) | instskip(NEXT) | instid1(SALU_CYCLE_2)
	s_sub_f32 s11, s23, s11
	s_add_f32 s23, s22, 0xbf2aaaaa
	s_delay_alu instid0(SALU_CYCLE_2) | instskip(NEXT) | instid1(SALU_CYCLE_2)
	s_add_f32 s11, s11, 0x31739010
	s_sub_f32 s15, s15, s23
	s_delay_alu instid0(SALU_CYCLE_2) | instskip(NEXT) | instid1(SALU_CYCLE_2)
	v_mov_b64_e32 v[2:3], s[10:11]
	v_mov_b64_e32 v[4:5], s[14:15]
	s_delay_alu instid0(VALU_DEP_1) | instskip(SKIP_2) | instid1(VALU_DEP_3)
	v_pk_mul_f32 v[6:7], v[2:3], v[4:5]
	v_pk_add_f32 v[2:3], v[2:3], v[4:5]
	v_mov_b32_e32 v9, s22
	v_xor_b32_e32 v8, 0x80000000, v6
	s_delay_alu instid0(VALU_DEP_3) | instskip(NEXT) | instid1(VALU_DEP_2)
	v_mov_b32_e32 v7, v3
	v_fmac_f32_e64 v8, s14, s10
	s_delay_alu instid0(VALU_DEP_1) | instskip(NEXT) | instid1(VALU_DEP_1)
	v_fmac_f32_e64 v8, s14, s21
	v_fmac_f32_e64 v8, s20, s10
	s_delay_alu instid0(VALU_DEP_1) | instskip(NEXT) | instid1(VALU_DEP_1)
	v_pk_add_f32 v[4:5], v[6:7], v[8:9]
	v_dual_mov_b32 v2, v5 :: v_dual_sub_f32 v7, s22, v5
	s_delay_alu instid0(VALU_DEP_2) | instskip(NEXT) | instid1(VALU_DEP_2)
	v_dual_sub_f32 v9, v4, v6 :: v_dual_mul_f32 v12, 0x3f317218, v1
	v_pk_mul_f32 v[10:11], v[4:5], v[2:3]
	s_delay_alu instid0(VALU_DEP_2) | instskip(NEXT) | instid1(VALU_DEP_3)
	v_dual_add_f32 v3, v3, v7 :: v_dual_sub_f32 v7, v8, v9
	v_xor_b32_e32 v6, 0x80000000, v12
	s_delay_alu instid0(VALU_DEP_3) | instskip(NEXT) | instid1(VALU_DEP_2)
	v_xor_b32_e32 v2, 0x80000000, v10
	v_fmac_f32_e32 v6, 0x3f317218, v1
	s_delay_alu instid0(VALU_DEP_2) | instskip(NEXT) | instid1(VALU_DEP_2)
	v_fmac_f32_e32 v2, v4, v5
	v_fmac_f32_e32 v6, 0xb102e308, v1
	v_ldexp_f32 v1, s21, 1
	s_delay_alu instid0(VALU_DEP_3) | instskip(NEXT) | instid1(VALU_DEP_1)
	v_fmac_f32_e32 v2, v4, v3
	v_fmac_f32_e32 v2, v7, v5
	v_ldexp_f32 v7, s10, 1
	s_delay_alu instid0(VALU_DEP_1) | instskip(NEXT) | instid1(VALU_DEP_1)
	v_dual_add_f32 v13, v10, v2 :: v_dual_mov_b32 v11, v7
	v_pk_add_f32 v[4:5], v[12:13], v[6:7]
	v_dual_mov_b32 v8, v13 :: v_dual_mov_b32 v3, v13
	s_delay_alu instid0(VALU_DEP_2) | instskip(NEXT) | instid1(VALU_DEP_1)
	v_dual_mov_b32 v9, v5 :: v_dual_mov_b32 v7, v4
	v_pk_add_f32 v[8:9], v[8:9], v[10:11] neg_lo:[0,1] neg_hi:[0,1]
	s_delay_alu instid0(VALU_DEP_1) | instskip(NEXT) | instid1(VALU_DEP_1)
	v_pk_add_f32 v[2:3], v[2:3], v[8:9] neg_lo:[0,1] neg_hi:[0,1]
	v_add_f32_e32 v1, v1, v2
	s_delay_alu instid0(VALU_DEP_1) | instskip(NEXT) | instid1(VALU_DEP_1)
	v_add_f32_e32 v13, v1, v3
	v_pk_add_f32 v[2:3], v[4:5], v[12:13]
	v_pk_add_f32 v[8:9], v[4:5], v[12:13] neg_lo:[0,1] neg_hi:[0,1]
	s_delay_alu instid0(VALU_DEP_2) | instskip(SKIP_1) | instid1(VALU_DEP_1)
	v_dual_mov_b32 v14, v5 :: v_dual_mov_b32 v16, v3
	v_mov_b32_e32 v9, v3
	v_pk_add_f32 v[10:11], v[6:7], v[8:9]
	s_delay_alu instid0(VALU_DEP_1) | instskip(SKIP_1) | instid1(VALU_DEP_2)
	v_mov_b32_e32 v12, v11
	v_pk_add_f32 v[6:7], v[6:7], v[8:9] neg_lo:[0,1] neg_hi:[0,1]
	v_pk_add_f32 v[8:9], v[12:13], v[4:5] neg_lo:[0,1] neg_hi:[0,1]
	v_mov_b32_e32 v17, v11
	s_delay_alu instid0(VALU_DEP_3) | instskip(SKIP_1) | instid1(VALU_DEP_4)
	v_readfirstlane_b32 s10, v6
	v_dual_mov_b32 v5, v4 :: v_dual_mov_b32 v4, v13
	v_dual_mov_b32 v15, v8 :: v_dual_mov_b32 v1, v8
	s_delay_alu instid0(VALU_DEP_3) | instskip(NEXT) | instid1(VALU_DEP_2)
	v_mov_b32_e32 v10, s10
	v_pk_add_f32 v[6:7], v[16:17], v[14:15] neg_lo:[0,1] neg_hi:[0,1]
	s_delay_alu instid0(VALU_DEP_3) | instskip(SKIP_1) | instid1(VALU_DEP_3)
	v_pk_add_f32 v[2:3], v[2:3], v[0:1] neg_lo:[0,1] neg_hi:[0,1]
	v_mov_b32_e32 v2, s10
	v_pk_add_f32 v[4:5], v[4:5], v[6:7] neg_lo:[0,1] neg_hi:[0,1]
	s_delay_alu instid0(VALU_DEP_1) | instskip(NEXT) | instid1(VALU_DEP_1)
	v_pk_add_f32 v[2:3], v[2:3], v[4:5]
	v_mov_b32_e32 v6, v3
	s_delay_alu instid0(VALU_DEP_2) | instskip(NEXT) | instid1(VALU_DEP_2)
	v_readfirstlane_b32 s11, v2
	v_pk_add_f32 v[6:7], v[2:3], v[6:7]
	s_delay_alu instid0(VALU_DEP_1) | instskip(SKIP_1) | instid1(VALU_DEP_2)
	v_pk_add_f32 v[8:9], v[12:13], v[6:7]
	v_mov_b32_e32 v5, v6
	v_readfirstlane_b32 s14, v8
	s_delay_alu instid0(VALU_DEP_1) | instskip(NEXT) | instid1(VALU_DEP_1)
	v_dual_mov_b32 v2, s11 :: v_dual_mov_b32 v3, s14
	v_pk_add_f32 v[2:3], v[2:3], v[10:11] neg_lo:[0,1] neg_hi:[0,1]
	s_delay_alu instid0(VALU_DEP_1) | instskip(NEXT) | instid1(VALU_DEP_2)
	v_readfirstlane_b32 s15, v2
	v_pk_add_f32 v[2:3], v[4:5], v[2:3] neg_lo:[0,1] neg_hi:[0,1]
	s_sub_f32 s11, s11, s15
	s_delay_alu instid0(VALU_DEP_1) | instskip(NEXT) | instid1(SALU_CYCLE_2)
	v_readfirstlane_b32 s15, v2
	s_sub_f32 s10, s10, s11
	v_readfirstlane_b32 s11, v3
	s_delay_alu instid0(SALU_CYCLE_2) | instskip(NEXT) | instid1(SALU_CYCLE_3)
	s_add_f32 s10, s15, s10
	s_add_f32 s10, s10, s11
	s_delay_alu instid0(SALU_CYCLE_3) | instskip(NEXT) | instid1(SALU_CYCLE_3)
	s_add_f32 s11, s14, s10
	s_mul_f32 s15, s8, s11
	s_sub_f32 s14, s11, s14
	s_delay_alu instid0(SALU_CYCLE_2) | instskip(NEXT) | instid1(SALU_CYCLE_2)
	s_xor_b32 s20, s15, 0x80000000
	s_sub_f32 s10, s10, s14
	s_fmac_f32 s20, s8, s11
	s_delay_alu instid0(SALU_CYCLE_3) | instskip(SKIP_1) | instid1(SALU_CYCLE_2)
	s_fmac_f32 s20, s8, s10
	v_cmp_class_f32_e64 s10, s15, 0x204
	s_add_f32 s11, s15, s20
	s_and_b32 s10, s10, exec_lo
	s_delay_alu instid0(SALU_CYCLE_2) | instskip(SKIP_1) | instid1(SALU_CYCLE_1)
	s_sub_f32 s10, s11, s15
	s_cselect_b32 s11, s15, s11
	s_and_b32 s14, s11, 0x7fffffff
	s_delay_alu instid0(SALU_CYCLE_1) | instskip(SKIP_1) | instid1(SALU_CYCLE_2)
	s_sub_f32 s10, s20, s10
	s_cmp_neq_f32 s14, 0x7f800000
	s_cselect_b32 s10, s10, 0
	s_cmp_eq_f32 s11, 0x42b17218
	s_cselect_b32 s14, 0x37000000, 0
	s_delay_alu instid0(SALU_CYCLE_1) | instskip(SKIP_1) | instid1(SALU_CYCLE_2)
	s_sub_f32 s11, s11, s14
	s_add_f32 s10, s14, s10
	s_mul_f32 s15, s11, 0x3fb8aa3b
	s_delay_alu instid0(SALU_CYCLE_3) | instskip(SKIP_3) | instid1(SALU_CYCLE_1)
	s_xor_b32 s20, s15, 0x80000000
	s_rndne_f32 s21, s15
	s_fmamk_f32 s20, s11, 0x3fb8aa3b, s20
	s_cmp_nlt_f32 s11, 0xc2ce8ed0
	s_sub_f32 s15, s15, s21
	s_delay_alu instid0(SALU_CYCLE_1)
	s_fmamk_f32 s20, s11, 0x32a5705f, s20
	s_cselect_b32 vcc_lo, -1, 0
	s_cmp_ngt_f32 s11, 0x42b17218
	s_trunc_f32 s11, s8
	s_add_f32 s15, s15, s20
	s_cvt_i32_f32 s20, s21
	s_delay_alu instid0(SALU_CYCLE_2)
	v_s_exp_f32 s15, s15
	v_nop
	s_delay_alu instid0(TRANS32_DEP_1) | instid1(SALU_CYCLE_1)
	v_ldexp_f32 v1, s15, s20
	s_mul_f32 s15, s8, 0.5
	s_delay_alu instid0(VALU_DEP_1) | instskip(SKIP_3) | instid1(VALU_DEP_1)
	v_cndmask_b32_e32 v1, 0, v1, vcc_lo
	s_cselect_b32 vcc_lo, -1, 0
	s_cmp_eq_f32 s11, s8
	s_trunc_f32 s20, s15
	v_cndmask_b32_e32 v1, 0x7f800000, v1, vcc_lo
	s_cselect_b32 s21, -1, 0
	s_delay_alu instid0(SALU_CYCLE_1) | instskip(NEXT) | instid1(VALU_DEP_1)
	s_cmp_neq_f32 s20, s15
	v_fma_f32 v2, s10, v1, v1
	s_cselect_b32 s14, -1, 0
	v_cmp_class_f32_e64 vcc_lo, v1, 0x204
	s_and_b32 s14, s21, s14
	s_delay_alu instid0(SALU_CYCLE_1)
	s_and_b32 s10, s14, exec_lo
	s_cselect_b32 s10, s9, 1.0
	s_cmp_eq_f32 s11, s8
	v_cndmask_b32_e32 v1, v2, v1, vcc_lo
	s_cselect_b32 vcc_lo, -1, 0
	s_bitcmp1_b32 s7, 0
	s_delay_alu instid0(VALU_DEP_1) | instskip(SKIP_3) | instid1(VALU_DEP_1)
	v_bfi_b32 v1, 0x7fffffff, v1, s10
	s_cselect_b32 s33, -1, 0
	s_and_b32 s7, s9, 0x7fffffff
	s_cmp_lt_f32 s9, 0
	v_cndmask_b32_e32 v2, 0x7fc00000, v1, vcc_lo
	s_cselect_b32 vcc_lo, -1, 0
	s_and_b32 s10, s8, 0x7fffffff
	s_delay_alu instid0(SALU_CYCLE_1) | instskip(NEXT) | instid1(VALU_DEP_1)
	s_cmp_neq_f32 s8, s10
	v_cndmask_b32_e32 v1, v1, v2, vcc_lo
	s_cselect_b32 s10, -1, 0
	s_cmp_lt_f32 s7, 1.0
	s_cselect_b32 s11, -1, 0
	s_delay_alu instid0(SALU_CYCLE_1)
	s_xor_b32 s10, s10, s11
	v_cmp_class_f32_e64 s11, s8, 0x204
	s_and_b32 s10, s10, exec_lo
	s_cselect_b32 s10, 0, 0x7f800000
	s_cmp_neq_f32 s7, 1.0
	s_cselect_b32 s7, s10, 1.0
	s_cmp_eq_f32 s9, 0
	v_cmp_class_f32_e64 s10, s9, 0x204
	v_cndmask_b32_e64 v1, v1, s7, s11
	s_cselect_b32 s15, -1, 0
	s_delay_alu instid0(SALU_CYCLE_1)
	s_or_b32 vcc_lo, s15, s10
	s_cmp_lt_f32 s8, 0
	s_add_nc_u64 s[10:11], s[0:1], s[2:3]
	s_mul_u64 s[2:3], s[2:3], 3
	s_cselect_b32 s7, -1, 0
	s_add_nc_u64 s[2:3], s[10:11], s[2:3]
	s_xor_b32 s7, s7, s15
	s_load_b32 s2, s[2:3], 0x800
	s_and_b32 s7, s7, exec_lo
	s_cselect_b32 s7, 0, 0x7f800000
	s_and_b32 s14, s14, exec_lo
	s_cselect_b32 s14, s9, 0
	s_wait_xcnt 0x0
	v_cmp_class_f32_e64 s3, s4, 0x260
	v_mov_b32_e32 v2, s14
	s_clause 0x3
	s_load_b64 s[10:11], s[0:1], s6 offset:0x0 scale_offset
	s_load_b64 s[14:15], s[0:1], s6 offset:0x120 scale_offset
	;; [unrolled: 1-line block ×4, first 2 shown]
	s_cmp_o_f32 s9, s8
	s_mov_b32 s9, 0
	v_bfi_b32 v2, 0x7fffffff, s7, v2
	s_delay_alu instid0(VALU_DEP_1)
	v_cndmask_b32_e32 v1, v1, v2, vcc_lo
	s_cselect_b32 vcc_lo, -1, 0
	s_and_b32 s3, s3, exec_lo
	s_cselect_b32 s34, s4, s5
	s_wait_kmcnt 0x0
	s_ashr_i32 s3, s2, 31
	v_sub_f32_e32 v1, 1.0, v1
	s_lshl_b64 s[6:7], s[2:3], 17
	s_lshl_b64 s[4:5], s[2:3], 16
	s_add_nc_u64 s[16:17], s[10:11], s[6:7]
	s_add_nc_u64 s[18:19], s[14:15], s[6:7]
	s_and_b64 s[2:3], s[16:17], 7
	s_and_b32 s8, s18, 7
	s_add_nc_u64 s[24:25], s[20:21], s[6:7]
	s_cmp_lg_u64 s[8:9], 0
	s_add_nc_u64 s[26:27], s[22:23], s[6:7]
	s_cselect_b32 s30, -1, 0
	s_or_b32 s8, s26, s24
	v_cndmask_b32_e32 v49, 0x7fc00000, v1, vcc_lo
	s_and_b32 s8, s8, 7
	s_delay_alu instid0(SALU_CYCLE_1) | instskip(SKIP_2) | instid1(SALU_CYCLE_1)
	s_cmp_lg_u32 s8, 0
	s_cselect_b32 s31, -1, 0
	s_and_b64 s[8:9], s[28:29], 3
	s_or_b64 s[2:3], s[2:3], s[8:9]
	s_or_b32 s8, s31, s30
	s_cmp_lg_u64 s[2:3], 0
	s_cselect_b32 s2, -1, 0
	s_delay_alu instid0(SALU_CYCLE_1)
	s_or_b32 s3, s8, s2
	s_mov_b32 s2, -1
	s_and_not1_b32 vcc_lo, exec_lo, s3
	s_sub_nc_u64 s[8:9], s[28:29], s[4:5]
	s_cbranch_vccz .LBB3_22
; %bb.7:
	v_min_i64 v[2:3], 0x10000, s[8:9]
	v_dual_mov_b32 v5, 0 :: v_dual_lshlrev_b32 v4, 2, v0
	s_mov_b32 s35, exec_lo
	s_delay_alu instid0(VALU_DEP_1)
	v_cmpx_lt_i64_e64 v[4:5], v[2:3]
	s_cbranch_execz .LBB3_21
; %bb.8:
	v_div_scale_f32 v1, null, v49, v49, v45
	v_div_scale_f32 v7, vcc_lo, v45, v49, v45
	s_load_b32 s3, s[0:1], 0xd64
	v_rcp_f32_e32 v4, v1
	v_xor_b32_e32 v6, 0x80000000, v1
	s_cmp_lg_u64 s[12:13], 0
	v_cmp_neq_f32_e64 s2, 0, v48
	v_mul_f32_e32 v24, v45, v48
	s_mov_b32 s29, 0
	s_cselect_b32 s36, -1, 0
	v_fma_f32 v1, v6, v4, 1.0
	s_mov_b32 s31, s29
	s_mov_b32 s37, s29
	s_delay_alu instid0(VALU_DEP_1) | instskip(NEXT) | instid1(VALU_DEP_1)
	v_fmac_f32_e32 v4, v1, v4
	v_mul_f32_e32 v8, v7, v4
	s_wait_kmcnt 0x0
	s_and_b32 s28, s3, 0xffff
	s_delay_alu instid0(SALU_CYCLE_1) | instskip(NEXT) | instid1(VALU_DEP_1)
	s_lshl_b32 s30, s28, 3
	v_fma_f32 v1, v6, v8, v7
	s_delay_alu instid0(VALU_DEP_1) | instskip(NEXT) | instid1(VALU_DEP_1)
	v_fmac_f32_e32 v8, v1, v4
	v_dual_mov_b32 v1, v5 :: v_dual_fmac_f32 v7, v6, v8
	s_delay_alu instid0(VALU_DEP_1) | instskip(SKIP_1) | instid1(VALU_DEP_2)
	v_div_fmas_f32 v6, v7, v4, v8
	v_lshlrev_b32_e32 v4, 3, v0
	v_div_fixup_f32 v25, v6, v49, v45
	s_delay_alu instid0(VALU_DEP_4)
	v_mov_b64_e32 v[6:7], v[0:1]
	s_branch .LBB3_10
.LBB3_9:                                ;   in Loop: Header=BB3_10 Depth=1
	v_add_nc_u64_e32 v[6:7], s[28:29], v[6:7]
	s_wait_xcnt 0x0
	v_cvt_pk_f16_f32 v15, v29, v19
	v_cvt_pk_f16_f32 v14, v18, v30
	s_add_nc_u64 s[26:27], s[26:27], s[30:31]
	s_add_nc_u64 s[16:17], s[16:17], s[30:31]
	s_add_nc_u64 s[24:25], s[24:25], s[30:31]
	s_add_nc_u64 s[18:19], s[18:19], s[30:31]
	v_lshlrev_b64_e32 v[12:13], 2, v[6:7]
	global_store_b64 v[10:11], v[14:15], off
	s_wait_xcnt 0x0
	v_cvt_pk_f16_f32 v11, v27, v21
	v_cvt_pk_f16_f32 v10, v20, v28
	v_cmp_ge_i64_e32 vcc_lo, v[12:13], v[2:3]
	global_store_b64 v[8:9], v[10:11], off
	s_or_b32 s37, vcc_lo, s37
	s_wait_xcnt 0x0
	s_and_not1_b32 exec_lo, exec_lo, s37
	s_cbranch_execz .LBB3_21
.LBB3_10:                               ; =>This Inner Loop Header: Depth=1
	s_delay_alu instid0(VALU_DEP_3)
	v_add_nc_u64_e32 v[12:13], s[18:19], v[4:5]
	v_add_nc_u64_e32 v[14:15], s[16:17], v[4:5]
	;; [unrolled: 1-line block ×4, first 2 shown]
	s_and_not1_b32 vcc_lo, exec_lo, s36
	global_load_b64 v[22:23], v[12:13], off
	global_load_b64 v[16:17], v[14:15], off
	;; [unrolled: 1-line block ×4, first 2 shown]
	s_wait_loadcnt 0x3
	v_cvt_f32_f16_e32 v1, v22
	s_cbranch_vccnz .LBB3_12
; %bb.11:                               ;   in Loop: Header=BB3_10 Depth=1
	global_load_b32 v26, v5, s[12:13]
	s_wait_loadcnt 0x0
	v_div_scale_f32 v27, null, v26, v26, v1
	s_delay_alu instid0(VALU_DEP_1) | instskip(SKIP_1) | instid1(TRANS32_DEP_1)
	v_rcp_f32_e32 v28, v27
	v_nop
	v_fma_f32 v29, -v27, v28, 1.0
	s_delay_alu instid0(VALU_DEP_1) | instskip(SKIP_1) | instid1(VALU_DEP_1)
	v_fmac_f32_e32 v28, v29, v28
	v_div_scale_f32 v29, vcc_lo, v1, v26, v1
	v_mul_f32_e32 v30, v29, v28
	s_delay_alu instid0(VALU_DEP_1) | instskip(NEXT) | instid1(VALU_DEP_1)
	v_fma_f32 v31, -v27, v30, v29
	v_fmac_f32_e32 v30, v31, v28
	s_delay_alu instid0(VALU_DEP_1) | instskip(NEXT) | instid1(VALU_DEP_1)
	v_fma_f32 v27, -v27, v30, v29
	v_div_fmas_f32 v27, v27, v28, v30
	s_delay_alu instid0(VALU_DEP_1)
	v_div_fixup_f32 v1, v27, v26, v1
.LBB3_12:                               ;   in Loop: Header=BB3_10 Depth=1
	v_lshrrev_b32_e32 v22, 16, v22
	s_and_not1_b32 vcc_lo, exec_lo, s36
	s_delay_alu instid0(VALU_DEP_1)
	v_cvt_f32_f16_e32 v22, v22
	s_cbranch_vccnz .LBB3_14
; %bb.13:                               ;   in Loop: Header=BB3_10 Depth=1
	global_load_b32 v26, v5, s[12:13]
	s_wait_loadcnt 0x0
	v_div_scale_f32 v27, null, v26, v26, v22
	s_delay_alu instid0(VALU_DEP_1) | instskip(SKIP_1) | instid1(TRANS32_DEP_1)
	v_rcp_f32_e32 v28, v27
	v_nop
	v_fma_f32 v29, -v27, v28, 1.0
	s_delay_alu instid0(VALU_DEP_1) | instskip(SKIP_1) | instid1(VALU_DEP_1)
	v_fmac_f32_e32 v28, v29, v28
	v_div_scale_f32 v29, vcc_lo, v22, v26, v22
	v_mul_f32_e32 v30, v29, v28
	s_delay_alu instid0(VALU_DEP_1) | instskip(NEXT) | instid1(VALU_DEP_1)
	v_fma_f32 v31, -v27, v30, v29
	v_fmac_f32_e32 v30, v31, v28
	s_delay_alu instid0(VALU_DEP_1) | instskip(NEXT) | instid1(VALU_DEP_1)
	v_fma_f32 v27, -v27, v30, v29
	v_div_fmas_f32 v27, v27, v28, v30
	s_delay_alu instid0(VALU_DEP_1)
	v_div_fixup_f32 v22, v27, v26, v22
.LBB3_14:                               ;   in Loop: Header=BB3_10 Depth=1
	v_cvt_f32_f16_e32 v26, v23
	s_and_not1_b32 vcc_lo, exec_lo, s36
	s_cbranch_vccnz .LBB3_16
; %bb.15:                               ;   in Loop: Header=BB3_10 Depth=1
	global_load_b32 v27, v5, s[12:13]
	s_wait_loadcnt 0x0
	v_div_scale_f32 v28, null, v27, v27, v26
	s_delay_alu instid0(VALU_DEP_1) | instskip(SKIP_1) | instid1(TRANS32_DEP_1)
	v_rcp_f32_e32 v29, v28
	v_nop
	v_fma_f32 v30, -v28, v29, 1.0
	s_delay_alu instid0(VALU_DEP_1) | instskip(SKIP_1) | instid1(VALU_DEP_1)
	v_fmac_f32_e32 v29, v30, v29
	v_div_scale_f32 v30, vcc_lo, v26, v27, v26
	v_mul_f32_e32 v31, v30, v29
	s_delay_alu instid0(VALU_DEP_1) | instskip(NEXT) | instid1(VALU_DEP_1)
	v_fma_f32 v32, -v28, v31, v30
	v_fmac_f32_e32 v31, v32, v29
	s_delay_alu instid0(VALU_DEP_1) | instskip(NEXT) | instid1(VALU_DEP_1)
	v_fma_f32 v28, -v28, v31, v30
	v_div_fmas_f32 v28, v28, v29, v31
	s_delay_alu instid0(VALU_DEP_1)
	v_div_fixup_f32 v26, v28, v27, v26
.LBB3_16:                               ;   in Loop: Header=BB3_10 Depth=1
	v_lshrrev_b32_e32 v23, 16, v23
	s_and_not1_b32 vcc_lo, exec_lo, s36
	s_delay_alu instid0(VALU_DEP_1)
	v_cvt_f32_f16_e32 v23, v23
	s_cbranch_vccnz .LBB3_18
; %bb.17:                               ;   in Loop: Header=BB3_10 Depth=1
	global_load_b32 v27, v5, s[12:13]
	s_wait_loadcnt 0x0
	v_div_scale_f32 v28, null, v27, v27, v23
	s_delay_alu instid0(VALU_DEP_1) | instskip(SKIP_1) | instid1(TRANS32_DEP_1)
	v_rcp_f32_e32 v29, v28
	v_nop
	v_fma_f32 v30, -v28, v29, 1.0
	s_delay_alu instid0(VALU_DEP_1) | instskip(SKIP_1) | instid1(VALU_DEP_1)
	v_fmac_f32_e32 v29, v30, v29
	v_div_scale_f32 v30, vcc_lo, v23, v27, v23
	v_mul_f32_e32 v31, v30, v29
	s_delay_alu instid0(VALU_DEP_1) | instskip(NEXT) | instid1(VALU_DEP_1)
	v_fma_f32 v32, -v28, v31, v30
	v_fmac_f32_e32 v31, v32, v29
	s_delay_alu instid0(VALU_DEP_1) | instskip(NEXT) | instid1(VALU_DEP_1)
	v_fma_f32 v28, -v28, v31, v30
	v_div_fmas_f32 v28, v28, v29, v31
	s_delay_alu instid0(VALU_DEP_1)
	v_div_fixup_f32 v23, v28, v27, v23
.LBB3_18:                               ;   in Loop: Header=BB3_10 Depth=1
	s_delay_alu instid0(VALU_DEP_1) | instskip(NEXT) | instid1(VALU_DEP_1)
	v_dual_cndmask_b32 v29, v26, -v26, s33 :: v_dual_cndmask_b32 v55, v23, -v23, s33
	v_mul_f32_e32 v27, v29, v29
	s_delay_alu instid0(VALU_DEP_1) | instskip(SKIP_1) | instid1(VALU_DEP_1)
	v_dual_fma_f32 v27, -v44, v27, v27 :: v_dual_fma_f32 v29, -v46, v29, v29
	s_wait_loadcnt 0x0
	v_fma_mix_f32 v27, v44, v21, v27 op_sel_hi:[0,1,0]
	s_delay_alu instid0(VALU_DEP_2) | instskip(NEXT) | instid1(VALU_DEP_2)
	v_fma_mix_f32 v29, v46, v19, v29 op_sel_hi:[0,1,0]
	v_mul_f32_e32 v28, 0x4f800000, v27
	v_cmp_gt_f32_e32 vcc_lo, 0xf800000, v27
	s_delay_alu instid0(VALU_DEP_2) | instskip(NEXT) | instid1(VALU_DEP_1)
	v_cndmask_b32_e32 v28, v27, v28, vcc_lo
	v_sqrt_f32_e32 v30, v28
	v_nop
	s_delay_alu instid0(TRANS32_DEP_1) | instskip(NEXT) | instid1(VALU_DEP_1)
	v_dual_add_nc_u32 v31, -1, v30 :: v_dual_add_nc_u32 v32, 1, v30
	v_dual_fma_f32 v33, -v31, v30, v28 :: v_dual_fma_f32 v34, -v32, v30, v28
	s_delay_alu instid0(VALU_DEP_1) | instskip(NEXT) | instid1(VALU_DEP_1)
	v_cmp_ge_f32_e64 s3, 0, v33
	v_cndmask_b32_e64 v30, v30, v31, s3
	s_delay_alu instid0(VALU_DEP_3) | instskip(SKIP_1) | instid1(VALU_DEP_1)
	v_cmp_lt_f32_e64 s3, 0, v34
	v_cndmask_b32_e64 v31, v22, -v22, s33
	v_dual_mul_f32 v33, v31, v31 :: v_dual_cndmask_b32 v30, v30, v32, s3
	s_delay_alu instid0(VALU_DEP_1) | instskip(NEXT) | instid1(VALU_DEP_1)
	v_mul_f32_e32 v32, 0x37800000, v30
	v_dual_cndmask_b32 v30, v30, v32, vcc_lo :: v_dual_fma_f32 v32, -v44, v33, v33
	v_cmp_class_f32_e64 vcc_lo, v28, 0x260
	s_delay_alu instid0(VALU_DEP_2) | instskip(NEXT) | instid1(VALU_DEP_3)
	v_cndmask_b32_e32 v30, v30, v28, vcc_lo
	v_fma_mix_f32 v28, v44, v20, v32 op_sel:[0,1,0] op_sel_hi:[0,1,0]
	s_delay_alu instid0(VALU_DEP_1) | instskip(NEXT) | instid1(VALU_DEP_3)
	v_mul_f32_e32 v33, 0x4f800000, v28
	v_div_scale_f32 v32, null, s34, s34, v30
	v_cmp_gt_f32_e64 s3, 0xf800000, v28
	v_div_scale_f32 v37, vcc_lo, v30, s34, v30
	s_delay_alu instid0(VALU_DEP_3) | instskip(NEXT) | instid1(VALU_DEP_2)
	v_rcp_f32_e32 v34, v32
	v_dual_cndmask_b32 v33, v28, v33, s3 :: v_dual_fma_f32 v31, -v46, v31, v31
	s_delay_alu instid0(TRANS32_DEP_1) | instskip(NEXT) | instid1(VALU_DEP_2)
	v_fma_f32 v35, -v32, v34, 1.0
	v_sqrt_f32_e32 v36, v33
	v_nop
	s_delay_alu instid0(TRANS32_DEP_1) | instskip(NEXT) | instid1(VALU_DEP_1)
	v_dual_fmac_f32 v34, v35, v34 :: v_dual_add_nc_u32 v39, 1, v36
	v_dual_mul_f32 v35, v37, v34 :: v_dual_add_nc_u32 v38, -1, v36
	s_delay_alu instid0(VALU_DEP_2) | instskip(NEXT) | instid1(VALU_DEP_2)
	v_fma_f32 v42, -v39, v36, v33
	v_fma_f32 v40, -v32, v35, v37
	s_delay_alu instid0(VALU_DEP_1) | instskip(NEXT) | instid1(VALU_DEP_1)
	v_dual_fma_f32 v41, -v38, v36, v33 :: v_dual_fmac_f32 v35, v40, v34
	v_cmp_ge_f32_e64 s4, 0, v41
	s_delay_alu instid0(VALU_DEP_1) | instskip(NEXT) | instid1(VALU_DEP_3)
	v_dual_cndmask_b32 v36, v36, v38, s4 :: v_dual_cndmask_b32 v38, v1, -v1, s33
	v_fma_f32 v32, -v32, v35, v37
	v_cmp_lt_f32_e64 s4, 0, v42
	s_delay_alu instid0(VALU_DEP_2) | instskip(NEXT) | instid1(VALU_DEP_2)
	v_div_fmas_f32 v32, v32, v34, v35
	v_dual_cndmask_b32 v36, v36, v39, s4 :: v_dual_mul_f32 v35, v38, v38
	v_cmp_class_f32_e64 vcc_lo, v33, 0x260
	s_delay_alu instid0(VALU_DEP_3) | instskip(NEXT) | instid1(VALU_DEP_3)
	v_div_fixup_f32 v30, v32, s34, v30
	v_mul_f32_e32 v34, 0x37800000, v36
	s_delay_alu instid0(VALU_DEP_1) | instskip(SKIP_1) | instid1(VALU_DEP_2)
	v_dual_cndmask_b32 v32, v36, v34, s3 :: v_dual_add_f32 v36, v30, v47
	v_dual_fma_f32 v34, -v44, v35, v35 :: v_dual_mul_f32 v35, v25, v29
	v_cndmask_b32_e32 v32, v32, v33, vcc_lo
	s_delay_alu instid0(VALU_DEP_2) | instskip(NEXT) | instid1(VALU_DEP_2)
	v_div_scale_f32 v30, null, v36, v36, v35
	v_div_scale_f32 v33, null, s34, s34, v32
	v_div_scale_f32 v43, vcc_lo, v35, v36, v35
	s_delay_alu instid0(VALU_DEP_3) | instskip(NEXT) | instid1(VALU_DEP_2)
	v_rcp_f32_e32 v37, v30
	v_rcp_f32_e32 v39, v33
	s_delay_alu instid0(TRANS32_DEP_2) | instskip(NEXT) | instid1(TRANS32_DEP_1)
	v_fma_f32 v40, -v30, v37, 1.0
	v_fma_f32 v42, -v33, v39, 1.0
	s_delay_alu instid0(VALU_DEP_1) | instskip(SKIP_1) | instid1(VALU_DEP_2)
	v_dual_fmac_f32 v37, v40, v37 :: v_dual_fmac_f32 v39, v42, v39
	v_div_scale_f32 v40, s4, v32, s34, v32
	v_mul_f32_e32 v42, v43, v37
	v_fma_mix_f32 v20, v44, v20, v34 op_sel_hi:[0,1,0]
	s_delay_alu instid0(VALU_DEP_2) | instskip(NEXT) | instid1(VALU_DEP_2)
	v_dual_mul_f32 v51, v40, v39 :: v_dual_fma_f32 v53, -v30, v42, v43
	v_mul_f32_e32 v34, 0x4f800000, v20
	v_cmp_gt_f32_e64 s3, 0xf800000, v20
	s_delay_alu instid0(VALU_DEP_1) | instskip(NEXT) | instid1(VALU_DEP_1)
	v_cndmask_b32_e64 v34, v20, v34, s3
	v_sqrt_f32_e32 v41, v34
	v_nop
	s_delay_alu instid0(TRANS32_DEP_1) | instskip(NEXT) | instid1(VALU_DEP_1)
	v_dual_add_nc_u32 v50, -1, v41 :: v_dual_add_nc_u32 v52, 1, v41
	v_dual_fma_f32 v56, -v33, v51, v40 :: v_dual_fma_f32 v54, -v50, v41, v34
	s_delay_alu instid0(VALU_DEP_2) | instskip(NEXT) | instid1(VALU_DEP_2)
	v_fma_f32 v57, -v52, v41, v34
	v_dual_fmac_f32 v42, v53, v37 :: v_dual_fmac_f32 v51, v56, v39
	s_delay_alu instid0(VALU_DEP_3) | instskip(NEXT) | instid1(VALU_DEP_2)
	v_cmp_ge_f32_e64 s5, 0, v54
	v_fma_f32 v33, -v33, v51, v40
	s_delay_alu instid0(VALU_DEP_2) | instskip(SKIP_1) | instid1(VALU_DEP_1)
	v_dual_mul_f32 v40, v55, v55 :: v_dual_cndmask_b32 v41, v41, v50, s5
	v_cmp_lt_f32_e64 s5, 0, v57
	v_dual_fma_f32 v30, -v30, v42, v43 :: v_dual_cndmask_b32 v41, v41, v52, s5
	s_delay_alu instid0(VALU_DEP_1)
	v_div_fmas_f32 v37, v30, v37, v42
	s_mov_b32 vcc_lo, s4
	v_fma_mix_f32 v30, v46, v18, v31 op_sel:[0,1,0] op_sel_hi:[0,1,0]
	v_div_fmas_f32 v33, v33, v39, v51
	v_mul_f32_e32 v39, 0x37800000, v41
	v_cmp_class_f32_e64 vcc_lo, v34, 0x260
	v_div_fixup_f32 v35, v37, v36, v35
	s_delay_alu instid0(VALU_DEP_4) | instskip(NEXT) | instid1(VALU_DEP_4)
	v_div_fixup_f32 v31, v33, s34, v32
	v_dual_cndmask_b32 v32, v41, v39, s3 :: v_dual_fma_f32 v33, -v44, v40, v40
	s_delay_alu instid0(VALU_DEP_2) | instskip(NEXT) | instid1(VALU_DEP_2)
	v_dual_mul_f32 v39, v25, v30 :: v_dual_add_f32 v31, v31, v47
	v_cndmask_b32_e32 v32, v32, v34, vcc_lo
	s_delay_alu instid0(VALU_DEP_3) | instskip(NEXT) | instid1(VALU_DEP_3)
	v_fma_mix_f32 v21, v44, v21, v33 op_sel:[0,1,0] op_sel_hi:[0,1,0]
	v_div_scale_f32 v33, null, v31, v31, v39
	s_delay_alu instid0(VALU_DEP_3) | instskip(NEXT) | instid1(VALU_DEP_3)
	v_div_scale_f32 v34, null, s34, s34, v32
	v_mul_f32_e32 v40, 0x4f800000, v21
	s_delay_alu instid0(VALU_DEP_3) | instskip(SKIP_1) | instid1(VALU_DEP_3)
	v_rcp_f32_e32 v41, v33
	v_cmp_gt_f32_e64 s3, 0xf800000, v21
	v_rcp_f32_e32 v42, v34
	v_div_scale_f32 v52, vcc_lo, v39, v31, v39
	s_delay_alu instid0(TRANS32_DEP_2) | instskip(NEXT) | instid1(VALU_DEP_3)
	v_fma_f32 v43, -v33, v41, 1.0
	v_cndmask_b32_e64 v40, v21, v40, s3
	s_delay_alu instid0(TRANS32_DEP_1) | instskip(NEXT) | instid1(VALU_DEP_3)
	v_fma_f32 v51, -v34, v42, 1.0
	v_fmac_f32_e32 v41, v43, v41
	s_delay_alu instid0(VALU_DEP_3) | instskip(SKIP_1) | instid1(VALU_DEP_2)
	v_sqrt_f32_e32 v50, v40
	v_div_scale_f32 v43, s4, v32, s34, v32
	v_dual_fmac_f32 v42, v51, v42 :: v_dual_mul_f32 v51, v52, v41
	s_delay_alu instid0(TRANS32_DEP_1) | instskip(NEXT) | instid1(VALU_DEP_2)
	v_add_nc_u32_e32 v53, -1, v50
	v_dual_mul_f32 v54, v43, v42 :: v_dual_fma_f32 v57, -v33, v51, v52
	s_delay_alu instid0(VALU_DEP_2) | instskip(NEXT) | instid1(VALU_DEP_1)
	v_dual_add_nc_u32 v56, 1, v50 :: v_dual_fma_f32 v58, -v53, v50, v40
	v_dual_fmac_f32 v51, v57, v41 :: v_dual_fma_f32 v60, -v56, v50, v40
	s_delay_alu instid0(VALU_DEP_3) | instskip(NEXT) | instid1(VALU_DEP_3)
	v_fma_f32 v59, -v34, v54, v43
	v_cmp_ge_f32_e64 s5, 0, v58
	v_fma_mix_f32 v57, -v24, v16, v16 op_sel:[0,1,1] op_sel_hi:[0,1,1]
	s_delay_alu instid0(VALU_DEP_4) | instskip(SKIP_1) | instid1(VALU_DEP_4)
	v_fma_f32 v33, -v33, v51, v52
	v_cvt_f32_f16_e32 v58, v16
	v_dual_fmac_f32 v54, v59, v42 :: v_dual_cndmask_b32 v50, v50, v53, s5
	v_cmp_lt_f32_e64 s5, 0, v60
	s_delay_alu instid0(VALU_DEP_4) | instskip(SKIP_2) | instid1(VALU_DEP_2)
	v_div_fmas_f32 v33, v33, v41, v51
	s_mov_b32 vcc_lo, s4
	v_fma_f32 v34, -v34, v54, v43
	v_div_fixup_f32 v31, v33, v31, v39
	s_delay_alu instid0(VALU_DEP_2) | instskip(SKIP_1) | instid1(VALU_DEP_2)
	v_div_fmas_f32 v34, v34, v42, v54
	v_cmp_class_f32_e64 vcc_lo, v40, 0x260
	v_div_fixup_f32 v32, v34, s34, v32
	s_delay_alu instid0(VALU_DEP_1) | instskip(NEXT) | instid1(VALU_DEP_1)
	v_dual_fma_f32 v38, -v46, v38, v38 :: v_dual_add_f32 v32, v32, v47
	v_fma_mix_f32 v18, v46, v18, v38 op_sel_hi:[0,1,0]
	s_delay_alu instid0(VALU_DEP_1) | instskip(NEXT) | instid1(VALU_DEP_1)
	v_dual_cndmask_b32 v50, v50, v56, s5 :: v_dual_mul_f32 v38, v25, v18
	v_mul_f32_e32 v41, 0x37800000, v50
	s_delay_alu instid0(VALU_DEP_1) | instskip(NEXT) | instid1(VALU_DEP_1)
	v_cndmask_b32_e64 v34, v50, v41, s3
	v_cndmask_b32_e32 v34, v34, v40, vcc_lo
	s_delay_alu instid0(VALU_DEP_4) | instskip(SKIP_1) | instid1(VALU_DEP_3)
	v_div_scale_f32 v40, null, v32, v32, v38
	v_div_scale_f32 v52, vcc_lo, v38, v32, v38
	v_div_scale_f32 v41, null, s34, s34, v34
	s_delay_alu instid0(VALU_DEP_3) | instskip(NEXT) | instid1(VALU_DEP_1)
	v_rcp_f32_e32 v42, v40
	v_rcp_f32_e32 v43, v41
	s_delay_alu instid0(TRANS32_DEP_2) | instskip(NEXT) | instid1(TRANS32_DEP_1)
	v_fma_f32 v50, -v40, v42, 1.0
	v_fma_f32 v51, -v41, v43, 1.0
	s_delay_alu instid0(VALU_DEP_2) | instskip(SKIP_1) | instid1(VALU_DEP_2)
	v_fmac_f32_e32 v42, v50, v42
	v_div_scale_f32 v50, s3, v34, s34, v34
	v_dual_fmac_f32 v43, v51, v43 :: v_dual_mul_f32 v51, v52, v42
	s_delay_alu instid0(VALU_DEP_1) | instskip(NEXT) | instid1(VALU_DEP_1)
	v_mul_f32_e32 v53, v50, v43
	v_dual_fma_f32 v54, -v40, v51, v52 :: v_dual_fma_f32 v56, -v41, v53, v50
	s_delay_alu instid0(VALU_DEP_1) | instskip(NEXT) | instid1(VALU_DEP_1)
	v_dual_fmac_f32 v51, v54, v42 :: v_dual_fmac_f32 v53, v56, v43
	v_dual_lshrrev_b32 v56, 16, v16 :: v_dual_fma_f32 v40, -v40, v51, v52
	v_fma_f32 v52, -v46, v55, v55
	v_fma_mix_f32 v55, -v24, v17, v17 op_sel_hi:[0,1,1]
	s_delay_alu instid0(VALU_DEP_4) | instskip(SKIP_3) | instid1(VALU_DEP_3)
	v_fma_f32 v41, -v41, v53, v50
	v_fma_mix_f32 v16, -v24, v16, v16 op_sel_hi:[0,1,1]
	v_div_fmas_f32 v40, v40, v42, v51
	s_mov_b32 vcc_lo, s3
	v_div_fmas_f32 v41, v41, v43, v53
	v_lshrrev_b32_e32 v53, 16, v17
	v_fma_mix_f32 v19, v46, v19, v52 op_sel:[0,1,0] op_sel_hi:[0,1,0]
	v_cvt_f32_f16_e32 v52, v17
	v_fma_mix_f32 v17, -v24, v17, v17 op_sel:[0,1,1] op_sel_hi:[0,1,1]
	v_div_fixup_f32 v34, v41, s34, v34
	v_cvt_f32_f16_e32 v53, v53
	v_mul_f32_e32 v41, v25, v19
	v_div_fixup_f32 v32, v40, v32, v38
	v_cndmask_b32_e64 v16, v58, v16, s2
	s_delay_alu instid0(VALU_DEP_4) | instskip(NEXT) | instid1(VALU_DEP_2)
	v_dual_add_f32 v34, v34, v47 :: v_dual_cndmask_b32 v17, v53, v17, s2
	v_sub_f32_e32 v16, v16, v32
	s_delay_alu instid0(VALU_DEP_2) | instskip(SKIP_1) | instid1(VALU_DEP_2)
	v_div_scale_f32 v42, null, v34, v34, v41
	v_div_scale_f32 v51, vcc_lo, v41, v34, v41
	v_rcp_f32_e32 v43, v42
	v_nop
	s_delay_alu instid0(TRANS32_DEP_1) | instskip(NEXT) | instid1(VALU_DEP_1)
	v_fma_f32 v50, -v42, v43, 1.0
	v_fmac_f32_e32 v43, v50, v43
	s_delay_alu instid0(VALU_DEP_1) | instskip(NEXT) | instid1(VALU_DEP_1)
	v_mul_f32_e32 v50, v51, v43
	v_fma_f32 v54, -v42, v50, v51
	s_delay_alu instid0(VALU_DEP_1) | instskip(NEXT) | instid1(VALU_DEP_1)
	v_fmac_f32_e32 v50, v54, v43
	v_dual_cndmask_b32 v52, v52, v55, s2 :: v_dual_fma_f32 v42, -v42, v50, v51
	v_cvt_f32_f16_e32 v51, v56
	s_delay_alu instid0(VALU_DEP_2) | instskip(NEXT) | instid1(VALU_DEP_2)
	v_div_fmas_f32 v42, v42, v43, v50
	v_cndmask_b32_e64 v43, v51, v57, s2
	s_and_not1_b32 vcc_lo, exec_lo, s36
	s_delay_alu instid0(VALU_DEP_2) | instskip(SKIP_1) | instid1(VALU_DEP_2)
	v_div_fixup_f32 v33, v42, v34, v41
	v_sub_f32_e32 v34, v52, v35
	v_dual_sub_f32 v31, v43, v31 :: v_dual_sub_f32 v17, v17, v33
	s_delay_alu instid0(VALU_DEP_1) | instskip(NEXT) | instid1(VALU_DEP_2)
	v_cvt_pk_f16_f32 v16, v16, v31
	v_cvt_pk_f16_f32 v17, v34, v17
	global_store_b64 v[14:15], v[16:17], off
	s_cbranch_vccnz .LBB3_9
; %bb.19:                               ;   in Loop: Header=BB3_10 Depth=1
	s_wait_xcnt 0x0
	v_cvt_pk_f16_f32 v15, v26, v23
	v_cvt_pk_f16_f32 v14, v1, v22
	global_store_b64 v[12:13], v[14:15], off
	s_branch .LBB3_9
.LBB3_20:
                                        ; implicit-def: $sgpr4
	v_mov_b32_e32 v45, s4
	s_branch .LBB3_2
.LBB3_21:
	s_or_b32 exec_lo, exec_lo, s35
	s_mov_b32 s2, 0
.LBB3_22:
	s_delay_alu instid0(SALU_CYCLE_1)
	s_and_not1_b32 vcc_lo, exec_lo, s2
	s_cbranch_vccnz .LBB3_84
; %bb.23:
	v_cmp_lt_i64_e64 s2, s[8:9], 1
	s_and_b32 vcc_lo, exec_lo, s2
	s_cbranch_vccnz .LBB3_84
; %bb.24:
	v_div_scale_f32 v4, null, v49, v49, v45
	v_dual_mov_b32 v1, 0 :: v_dual_lshlrev_b32 v14, 1, v0
	s_load_b32 s1, s[0:1], 0xd64
	s_delay_alu instid0(VALU_DEP_2)
	v_rcp_f32_e32 v26, v4
	v_xor_b32_e32 v20, 0x80000000, v4
	v_div_scale_f32 v27, vcc_lo, v45, v49, v45
	v_min_i64 v[2:3], 0x10000, s[8:9]
	v_min_u64 v[4:5], 0x10000, s[8:9]
	s_mov_b32 s3, 0
	s_delay_alu instid0(TRANS32_DEP_1)
	v_fma_f32 v6, v20, v26, 1.0
	v_mov_b32_e32 v15, v1
	s_mov_b32 s9, s3
	s_mov_b32 s5, s3
	;; [unrolled: 1-line block ×3, first 2 shown]
	v_fmac_f32_e32 v26, v6, v26
	v_add_nc_u64_e32 v[6:7], s[10:11], v[14:15]
	v_add_nc_u64_e32 v[8:9], s[14:15], v[14:15]
	;; [unrolled: 1-line block ×4, first 2 shown]
	v_mul_f32_e32 v28, v27, v26
	s_wait_xcnt 0x0
	v_cmp_neq_f32_e64 s0, 0, v48
	s_wait_kmcnt 0x0
	s_and_b32 s2, s1, 0xffff
	v_mul_f32_e32 v48, v45, v48
	s_lshl_b32 s4, s2, 1
	v_fma_f32 v16, v20, v28, v27
	v_mad_nc_u64_u32 v[22:23], s2, 6, v[14:15]
	s_cmp_lg_u64 s[12:13], 0
	s_mul_i32 s18, s2, 3
	s_cselect_b32 s16, -1, 0
	v_dual_fmac_f32 v28, v16, v26 :: v_dual_mov_b32 v43, v1
	s_lshl_b32 s8, s2, 2
	v_add_nc_u64_e32 v[24:25], s[18:19], v[0:1]
	v_add_nc_u64_e32 v[32:33], s[8:9], v[14:15]
	s_delay_alu instid0(VALU_DEP_3)
	v_fmac_f32_e32 v27, v20, v28
	v_add_nc_u64_e32 v[20:21], s[2:3], v[0:1]
	v_add_nc_u64_e32 v[14:15], s[10:11], v[22:23]
	;; [unrolled: 1-line block ×4, first 2 shown]
	v_div_fmas_f32 v50, v27, v26, v28
	v_add_nc_u64_e32 v[22:23], s[22:23], v[22:23]
	v_add_nc_u64_e32 v[26:27], s[10:11], v[32:33]
	v_lshlrev_b32_e32 v42, 1, v20
	v_add_nc_u64_e32 v[28:29], s[14:15], v[32:33]
	v_add_nc_u64_e32 v[30:31], s[20:21], v[32:33]
	;; [unrolled: 1-line block ×8, first 2 shown]
	v_div_fixup_f32 v45, v50, v49, v45
	s_mov_b64 s[10:11], 0
	s_lshl_b32 s14, s2, 3
	s_mov_b32 s15, s3
	s_branch .LBB3_26
.LBB3_25:                               ;   in Loop: Header=BB3_26 Depth=1
	s_wait_xcnt 0x0
	s_or_b32 exec_lo, exec_lo, s1
	s_add_nc_u64 s[10:11], s[10:11], s[8:9]
	v_add_nc_u64_e32 v[6:7], s[14:15], v[6:7]
	v_cmp_ge_i64_e32 vcc_lo, s[10:11], v[2:3]
	v_add_nc_u64_e32 v[8:9], s[14:15], v[8:9]
	v_add_nc_u64_e32 v[10:11], s[14:15], v[10:11]
	;; [unrolled: 1-line block ×15, first 2 shown]
	s_cbranch_vccnz .LBB3_84
.LBB3_26:                               ; =>This Inner Loop Header: Depth=1
	v_add_nc_u64_e32 v[50:51], s[10:11], v[0:1]
	v_dual_mov_b32 v49, 0 :: v_dual_mov_b32 v60, 0
	s_delay_alu instid0(VALU_DEP_2)
	v_cmp_lt_u64_e64 s1, v[50:51], v[4:5]
	s_and_saveexec_b32 s2, s1
	s_cbranch_execz .LBB3_28
; %bb.27:                               ;   in Loop: Header=BB3_26 Depth=1
	v_add_nc_u64_e32 v[50:51], s[6:7], v[6:7]
	v_add_nc_u64_e32 v[52:53], s[6:7], v[8:9]
	global_load_u16 v49, v[50:51], off
	global_load_u16 v54, v[52:53], off
	s_wait_loadcnt 0x1
	v_cvt_f32_f16_e32 v60, v49
	s_wait_loadcnt 0x0
	v_cvt_f32_f16_e32 v49, v54
.LBB3_28:                               ;   in Loop: Header=BB3_26 Depth=1
	s_wait_xcnt 0x0
	s_or_b32 exec_lo, exec_lo, s2
	v_dual_mov_b32 v50, 0 :: v_dual_mov_b32 v63, 0
	v_mov_b32_e32 v66, 0
	s_and_saveexec_b32 s2, s1
	s_cbranch_execz .LBB3_30
; %bb.29:                               ;   in Loop: Header=BB3_26 Depth=1
	v_add_nc_u64_e32 v[52:53], s[6:7], v[10:11]
	v_add_nc_u64_e32 v[54:55], s[6:7], v[12:13]
	global_load_u16 v51, v[52:53], off
	global_load_u16 v56, v[54:55], off
	s_wait_loadcnt 0x1
	v_cvt_f32_f16_e32 v66, v51
	s_wait_loadcnt 0x0
	v_cvt_f32_f16_e32 v63, v56
.LBB3_30:                               ;   in Loop: Header=BB3_26 Depth=1
	s_wait_xcnt 0x0
	s_or_b32 exec_lo, exec_lo, s2
	v_add_nc_u64_e32 v[52:53], s[10:11], v[20:21]
	v_mov_b32_e32 v56, 0
	s_delay_alu instid0(VALU_DEP_2)
	v_cmp_lt_u64_e64 s2, v[52:53], v[4:5]
	s_and_saveexec_b32 s3, s2
	s_cbranch_execz .LBB3_32
; %bb.31:                               ;   in Loop: Header=BB3_26 Depth=1
	v_add_nc_u64_e32 v[50:51], s[6:7], v[36:37]
	v_add_nc_u64_e32 v[52:53], s[6:7], v[38:39]
	global_load_u16 v54, v[50:51], off
	global_load_u16 v55, v[52:53], off
	s_wait_loadcnt 0x1
	v_cvt_f32_f16_e32 v56, v54
	s_wait_loadcnt 0x0
	s_wait_xcnt 0x1
	v_cvt_f32_f16_e32 v50, v55
.LBB3_32:                               ;   in Loop: Header=BB3_26 Depth=1
	s_wait_xcnt 0x0
	s_or_b32 exec_lo, exec_lo, s3
	v_dual_mov_b32 v51, 0 :: v_dual_mov_b32 v64, 0
	v_mov_b32_e32 v65, 0
	s_and_saveexec_b32 s3, s2
	s_cbranch_execz .LBB3_34
; %bb.33:                               ;   in Loop: Header=BB3_26 Depth=1
	v_add_nc_u64_e32 v[52:53], s[6:7], v[40:41]
	v_add_nc_u64_e32 v[54:55], s[6:7], v[42:43]
	global_load_u16 v57, v[52:53], off
	global_load_u16 v58, v[54:55], off
	s_wait_loadcnt 0x1
	v_cvt_f32_f16_e32 v65, v57
	s_wait_loadcnt 0x0
	v_cvt_f32_f16_e32 v64, v58
.LBB3_34:                               ;   in Loop: Header=BB3_26 Depth=1
	s_wait_xcnt 0x0
	s_or_b32 exec_lo, exec_lo, s3
	v_add_nc_u64_e32 v[52:53], s[10:11], v[34:35]
	v_mov_b32_e32 v55, 0
	s_delay_alu instid0(VALU_DEP_2)
	v_cmp_lt_u64_e64 s3, v[52:53], v[4:5]
	s_and_saveexec_b32 s4, s3
	s_cbranch_execz .LBB3_36
; %bb.35:                               ;   in Loop: Header=BB3_26 Depth=1
	v_add_nc_u64_e32 v[52:53], s[6:7], v[26:27]
	v_add_nc_u64_e32 v[54:55], s[6:7], v[28:29]
	global_load_u16 v51, v[52:53], off
	global_load_u16 v57, v[54:55], off
	s_wait_loadcnt 0x1
	s_wait_xcnt 0x0
	v_cvt_f32_f16_e32 v55, v51
	s_wait_loadcnt 0x0
	v_cvt_f32_f16_e32 v51, v57
.LBB3_36:                               ;   in Loop: Header=BB3_26 Depth=1
	s_or_b32 exec_lo, exec_lo, s4
	v_dual_mov_b32 v52, 0 :: v_dual_mov_b32 v61, 0
	v_mov_b32_e32 v62, 0
	s_and_saveexec_b32 s4, s3
	s_cbranch_execz .LBB3_38
; %bb.37:                               ;   in Loop: Header=BB3_26 Depth=1
	v_add_nc_u64_e32 v[58:59], s[6:7], v[30:31]
	v_add_nc_u64_e32 v[68:69], s[6:7], v[32:33]
	global_load_u16 v53, v[58:59], off
	global_load_u16 v54, v[68:69], off
	s_wait_loadcnt 0x1
	v_cvt_f32_f16_e32 v62, v53
	s_wait_loadcnt 0x0
	v_cvt_f32_f16_e32 v61, v54
.LBB3_38:                               ;   in Loop: Header=BB3_26 Depth=1
	s_wait_xcnt 0x0
	s_or_b32 exec_lo, exec_lo, s4
	v_add_nc_u64_e32 v[58:59], s[10:11], v[24:25]
	v_mov_b32_e32 v53, 0
	s_delay_alu instid0(VALU_DEP_2)
	v_cmp_lt_u64_e64 s4, v[58:59], v[4:5]
	s_and_saveexec_b32 s5, s4
	s_cbranch_execz .LBB3_40
; %bb.39:                               ;   in Loop: Header=BB3_26 Depth=1
	v_add_nc_u64_e32 v[52:53], s[6:7], v[14:15]
	v_add_nc_u64_e32 v[58:59], s[6:7], v[16:17]
	global_load_u16 v54, v[52:53], off
	global_load_u16 v57, v[58:59], off
	s_wait_loadcnt 0x1
	s_wait_xcnt 0x1
	v_cvt_f32_f16_e32 v53, v54
	s_wait_loadcnt 0x0
	v_cvt_f32_f16_e32 v52, v57
.LBB3_40:                               ;   in Loop: Header=BB3_26 Depth=1
	s_wait_xcnt 0x0
	s_or_b32 exec_lo, exec_lo, s5
	v_dual_mov_b32 v58, 0 :: v_dual_mov_b32 v59, 0
	s_and_saveexec_b32 s5, s4
	s_cbranch_execz .LBB3_42
; %bb.41:                               ;   in Loop: Header=BB3_26 Depth=1
	v_add_nc_u64_e32 v[58:59], s[6:7], v[18:19]
	v_add_nc_u64_e32 v[68:69], s[6:7], v[22:23]
	global_load_u16 v54, v[58:59], off
	global_load_u16 v57, v[68:69], off
	s_wait_loadcnt 0x1
	s_wait_xcnt 0x1
	v_cvt_f32_f16_e32 v59, v54
	s_wait_loadcnt 0x0
	v_cvt_f32_f16_e32 v58, v57
.LBB3_42:                               ;   in Loop: Header=BB3_26 Depth=1
	s_wait_xcnt 0x0
	s_or_b32 exec_lo, exec_lo, s5
	s_delay_alu instid0(SALU_CYCLE_1)
	s_and_not1_b32 vcc_lo, exec_lo, s16
	s_cbranch_vccnz .LBB3_44
; %bb.43:                               ;   in Loop: Header=BB3_26 Depth=1
	global_load_b32 v54, v1, s[12:13]
	s_wait_loadcnt 0x0
	v_div_scale_f32 v57, null, v54, v54, v49
	s_delay_alu instid0(VALU_DEP_1) | instskip(SKIP_1) | instid1(TRANS32_DEP_1)
	v_rcp_f32_e32 v67, v57
	v_nop
	v_fma_f32 v68, -v57, v67, 1.0
	s_delay_alu instid0(VALU_DEP_1) | instskip(SKIP_1) | instid1(VALU_DEP_1)
	v_fmac_f32_e32 v67, v68, v67
	v_div_scale_f32 v68, vcc_lo, v49, v54, v49
	v_mul_f32_e32 v69, v68, v67
	s_delay_alu instid0(VALU_DEP_1) | instskip(NEXT) | instid1(VALU_DEP_1)
	v_fma_f32 v70, -v57, v69, v68
	v_fmac_f32_e32 v69, v70, v67
	s_delay_alu instid0(VALU_DEP_1) | instskip(NEXT) | instid1(VALU_DEP_1)
	v_fma_f32 v57, -v57, v69, v68
	v_div_fmas_f32 v57, v57, v67, v69
	s_delay_alu instid0(VALU_DEP_1)
	v_div_fixup_f32 v49, v57, v54, v49
.LBB3_44:                               ;   in Loop: Header=BB3_26 Depth=1
	s_and_not1_b32 vcc_lo, exec_lo, s16
	s_cbranch_vccnz .LBB3_46
; %bb.45:                               ;   in Loop: Header=BB3_26 Depth=1
	global_load_b32 v54, v1, s[12:13]
	s_wait_loadcnt 0x0
	v_div_scale_f32 v57, null, v54, v54, v50
	s_delay_alu instid0(VALU_DEP_1) | instskip(SKIP_1) | instid1(TRANS32_DEP_1)
	v_rcp_f32_e32 v67, v57
	v_nop
	v_fma_f32 v68, -v57, v67, 1.0
	s_delay_alu instid0(VALU_DEP_1) | instskip(SKIP_1) | instid1(VALU_DEP_1)
	v_fmac_f32_e32 v67, v68, v67
	v_div_scale_f32 v68, vcc_lo, v50, v54, v50
	v_mul_f32_e32 v69, v68, v67
	s_delay_alu instid0(VALU_DEP_1) | instskip(NEXT) | instid1(VALU_DEP_1)
	v_fma_f32 v70, -v57, v69, v68
	v_fmac_f32_e32 v69, v70, v67
	s_delay_alu instid0(VALU_DEP_1) | instskip(NEXT) | instid1(VALU_DEP_1)
	v_fma_f32 v57, -v57, v69, v68
	v_div_fmas_f32 v57, v57, v67, v69
	s_delay_alu instid0(VALU_DEP_1)
	v_div_fixup_f32 v50, v57, v54, v50
.LBB3_46:                               ;   in Loop: Header=BB3_26 Depth=1
	;; [unrolled: 23-line block ×4, first 2 shown]
	v_cndmask_b32_e64 v54, v49, -v49, s33
	s_delay_alu instid0(VALU_DEP_1) | instskip(NEXT) | instid1(VALU_DEP_1)
	v_fma_f32 v57, -v46, v54, v54
	v_fmac_f32_e32 v57, v46, v66
	v_mul_f32_e32 v67, v54, v54
	s_delay_alu instid0(VALU_DEP_1) | instskip(NEXT) | instid1(VALU_DEP_1)
	v_fma_f32 v54, -v44, v67, v67
	v_fmac_f32_e32 v54, v44, v63
	s_wait_xcnt 0x0
	s_and_saveexec_b32 s17, s1
	s_cbranch_execz .LBB3_52
; %bb.51:                               ;   in Loop: Header=BB3_26 Depth=1
	s_delay_alu instid0(VALU_DEP_1) | instskip(SKIP_1) | instid1(VALU_DEP_1)
	v_cmp_gt_f32_e32 vcc_lo, 0xf800000, v54
	v_mul_f32_e32 v63, 0x4f800000, v54
	v_cndmask_b32_e32 v63, v54, v63, vcc_lo
	s_delay_alu instid0(VALU_DEP_1) | instskip(SKIP_1) | instid1(TRANS32_DEP_1)
	v_sqrt_f32_e32 v66, v63
	v_nop
	v_dual_add_nc_u32 v67, -1, v66 :: v_dual_add_nc_u32 v68, 1, v66
	s_delay_alu instid0(VALU_DEP_1) | instskip(NEXT) | instid1(VALU_DEP_1)
	v_fma_f32 v69, -v67, v66, v63
	v_cmp_ge_f32_e64 s5, 0, v69
	s_delay_alu instid0(VALU_DEP_1) | instskip(NEXT) | instid1(VALU_DEP_1)
	v_dual_fma_f32 v70, -v68, v66, v63 :: v_dual_cndmask_b32 v66, v66, v67, s5
	v_cmp_lt_f32_e64 s5, 0, v70
	s_delay_alu instid0(VALU_DEP_1) | instskip(NEXT) | instid1(VALU_DEP_1)
	v_cndmask_b32_e64 v66, v66, v68, s5
	v_mul_f32_e32 v67, 0x37800000, v66
	s_delay_alu instid0(VALU_DEP_1) | instskip(SKIP_1) | instid1(VALU_DEP_2)
	v_cndmask_b32_e32 v66, v66, v67, vcc_lo
	v_cmp_class_f32_e64 vcc_lo, v63, 0x260
	v_cndmask_b32_e32 v63, v66, v63, vcc_lo
	s_delay_alu instid0(VALU_DEP_1) | instskip(SKIP_1) | instid1(VALU_DEP_2)
	v_div_scale_f32 v66, null, s34, s34, v63
	v_div_scale_f32 v69, vcc_lo, v63, s34, v63
	v_rcp_f32_e32 v67, v66
	v_nop
	s_delay_alu instid0(TRANS32_DEP_1) | instskip(NEXT) | instid1(VALU_DEP_1)
	v_fma_f32 v68, -v66, v67, 1.0
	v_fmac_f32_e32 v67, v68, v67
	s_delay_alu instid0(VALU_DEP_1) | instskip(NEXT) | instid1(VALU_DEP_1)
	v_mul_f32_e32 v68, v69, v67
	v_fma_f32 v70, -v66, v68, v69
	s_delay_alu instid0(VALU_DEP_1) | instskip(NEXT) | instid1(VALU_DEP_1)
	v_fmac_f32_e32 v68, v70, v67
	v_fma_f32 v66, -v66, v68, v69
	s_delay_alu instid0(VALU_DEP_1) | instskip(NEXT) | instid1(VALU_DEP_1)
	v_div_fmas_f32 v66, v66, v67, v68
	v_div_fixup_f32 v63, v66, s34, v63
	s_delay_alu instid0(VALU_DEP_1) | instskip(NEXT) | instid1(VALU_DEP_1)
	v_dual_mul_f32 v66, v45, v57 :: v_dual_add_f32 v63, v63, v47
	v_div_scale_f32 v67, null, v63, v63, v66
	s_delay_alu instid0(VALU_DEP_1) | instskip(SKIP_1) | instid1(TRANS32_DEP_1)
	v_rcp_f32_e32 v68, v67
	v_nop
	v_fma_f32 v69, -v67, v68, 1.0
	s_delay_alu instid0(VALU_DEP_1) | instskip(SKIP_1) | instid1(VALU_DEP_1)
	v_fmac_f32_e32 v68, v69, v68
	v_div_scale_f32 v69, vcc_lo, v66, v63, v66
	v_mul_f32_e32 v70, v69, v68
	s_delay_alu instid0(VALU_DEP_1) | instskip(NEXT) | instid1(VALU_DEP_1)
	v_fma_f32 v71, -v67, v70, v69
	v_fmac_f32_e32 v70, v71, v68
	s_delay_alu instid0(VALU_DEP_1) | instskip(NEXT) | instid1(VALU_DEP_1)
	v_dual_fma_f32 v67, -v67, v70, v69 :: v_dual_fma_f32 v69, -v48, v60, v60
	v_cndmask_b32_e64 v60, v60, v69, s0
	s_delay_alu instid0(VALU_DEP_2) | instskip(NEXT) | instid1(VALU_DEP_1)
	v_div_fmas_f32 v67, v67, v68, v70
	v_div_fixup_f32 v63, v67, v63, v66
	v_add_nc_u64_e32 v[66:67], s[6:7], v[6:7]
	s_delay_alu instid0(VALU_DEP_2) | instskip(NEXT) | instid1(VALU_DEP_1)
	v_sub_f32_e32 v60, v60, v63
	v_cvt_f16_f32_e32 v60, v60
	global_store_b16 v[66:67], v60, off
.LBB3_52:                               ;   in Loop: Header=BB3_26 Depth=1
	s_wait_xcnt 0x0
	s_or_b32 exec_lo, exec_lo, s17
	v_cndmask_b32_e64 v60, v50, -v50, s33
	s_delay_alu instid0(VALU_DEP_1) | instskip(NEXT) | instid1(VALU_DEP_1)
	v_dual_mul_f32 v66, v60, v60 :: v_dual_fma_f32 v63, -v46, v60, v60
	v_dual_fma_f32 v60, -v44, v66, v66 :: v_dual_fmac_f32 v63, v46, v65
	s_delay_alu instid0(VALU_DEP_1)
	v_fmac_f32_e32 v60, v44, v64
	s_and_saveexec_b32 s17, s2
	s_cbranch_execz .LBB3_54
; %bb.53:                               ;   in Loop: Header=BB3_26 Depth=1
	s_delay_alu instid0(VALU_DEP_1) | instskip(SKIP_1) | instid1(VALU_DEP_2)
	v_mul_f32_e32 v64, 0x4f800000, v60
	v_cmp_gt_f32_e32 vcc_lo, 0xf800000, v60
	v_cndmask_b32_e32 v64, v60, v64, vcc_lo
	s_delay_alu instid0(VALU_DEP_1) | instskip(SKIP_1) | instid1(TRANS32_DEP_1)
	v_sqrt_f32_e32 v65, v64
	v_nop
	v_dual_add_nc_u32 v66, -1, v65 :: v_dual_add_nc_u32 v67, 1, v65
	s_delay_alu instid0(VALU_DEP_1) | instskip(NEXT) | instid1(VALU_DEP_1)
	v_dual_fma_f32 v68, -v66, v65, v64 :: v_dual_fma_f32 v69, -v67, v65, v64
	v_cmp_ge_f32_e64 s5, 0, v68
	s_delay_alu instid0(VALU_DEP_1) | instskip(NEXT) | instid1(VALU_DEP_3)
	v_cndmask_b32_e64 v65, v65, v66, s5
	v_cmp_lt_f32_e64 s5, 0, v69
	s_delay_alu instid0(VALU_DEP_1) | instskip(NEXT) | instid1(VALU_DEP_1)
	v_cndmask_b32_e64 v65, v65, v67, s5
	v_mul_f32_e32 v66, 0x37800000, v65
	s_delay_alu instid0(VALU_DEP_1) | instskip(SKIP_1) | instid1(VALU_DEP_2)
	v_cndmask_b32_e32 v65, v65, v66, vcc_lo
	v_cmp_class_f32_e64 vcc_lo, v64, 0x260
	v_cndmask_b32_e32 v64, v65, v64, vcc_lo
	s_delay_alu instid0(VALU_DEP_1) | instskip(SKIP_1) | instid1(VALU_DEP_2)
	v_div_scale_f32 v65, null, s34, s34, v64
	v_div_scale_f32 v68, vcc_lo, v64, s34, v64
	v_rcp_f32_e32 v66, v65
	v_nop
	s_delay_alu instid0(TRANS32_DEP_1) | instskip(NEXT) | instid1(VALU_DEP_1)
	v_fma_f32 v67, -v65, v66, 1.0
	v_fmac_f32_e32 v66, v67, v66
	s_delay_alu instid0(VALU_DEP_1) | instskip(NEXT) | instid1(VALU_DEP_1)
	v_mul_f32_e32 v67, v68, v66
	v_fma_f32 v69, -v65, v67, v68
	s_delay_alu instid0(VALU_DEP_1) | instskip(NEXT) | instid1(VALU_DEP_1)
	v_fmac_f32_e32 v67, v69, v66
	v_fma_f32 v65, -v65, v67, v68
	s_delay_alu instid0(VALU_DEP_1) | instskip(NEXT) | instid1(VALU_DEP_1)
	v_div_fmas_f32 v65, v65, v66, v67
	v_div_fixup_f32 v64, v65, s34, v64
	v_mul_f32_e32 v65, v45, v63
	s_delay_alu instid0(VALU_DEP_2) | instskip(NEXT) | instid1(VALU_DEP_1)
	v_add_f32_e32 v64, v64, v47
	v_div_scale_f32 v66, null, v64, v64, v65
	s_delay_alu instid0(VALU_DEP_1) | instskip(SKIP_1) | instid1(TRANS32_DEP_1)
	v_rcp_f32_e32 v67, v66
	v_nop
	v_fma_f32 v68, -v66, v67, 1.0
	s_delay_alu instid0(VALU_DEP_1) | instskip(SKIP_1) | instid1(VALU_DEP_1)
	v_fmac_f32_e32 v67, v68, v67
	v_div_scale_f32 v68, vcc_lo, v65, v64, v65
	v_mul_f32_e32 v69, v68, v67
	s_delay_alu instid0(VALU_DEP_1) | instskip(NEXT) | instid1(VALU_DEP_1)
	v_fma_f32 v70, -v66, v69, v68
	v_fmac_f32_e32 v69, v70, v67
	s_delay_alu instid0(VALU_DEP_1) | instskip(SKIP_1) | instid1(VALU_DEP_1)
	v_fma_f32 v66, -v66, v69, v68
	v_fma_f32 v68, -v48, v56, v56
	v_cndmask_b32_e64 v56, v56, v68, s0
	s_delay_alu instid0(VALU_DEP_3) | instskip(NEXT) | instid1(VALU_DEP_1)
	v_div_fmas_f32 v66, v66, v67, v69
	v_div_fixup_f32 v64, v66, v64, v65
	s_delay_alu instid0(VALU_DEP_1) | instskip(SKIP_1) | instid1(VALU_DEP_2)
	v_sub_f32_e32 v56, v56, v64
	v_add_nc_u64_e32 v[64:65], s[6:7], v[36:37]
	v_cvt_f16_f32_e32 v56, v56
	global_store_b16 v[64:65], v56, off
.LBB3_54:                               ;   in Loop: Header=BB3_26 Depth=1
	s_wait_xcnt 0x0
	s_or_b32 exec_lo, exec_lo, s17
	v_cndmask_b32_e64 v56, v51, -v51, s33
	s_delay_alu instid0(VALU_DEP_1) | instskip(NEXT) | instid1(VALU_DEP_1)
	v_fma_f32 v64, -v46, v56, v56
	v_dual_fmac_f32 v64, v46, v62 :: v_dual_mul_f32 v65, v56, v56
	s_delay_alu instid0(VALU_DEP_1) | instskip(NEXT) | instid1(VALU_DEP_1)
	v_fma_f32 v56, -v44, v65, v65
	v_fmac_f32_e32 v56, v44, v61
	s_and_saveexec_b32 s17, s3
	s_cbranch_execz .LBB3_56
; %bb.55:                               ;   in Loop: Header=BB3_26 Depth=1
	s_delay_alu instid0(VALU_DEP_1) | instskip(SKIP_1) | instid1(VALU_DEP_2)
	v_mul_f32_e32 v61, 0x4f800000, v56
	v_cmp_gt_f32_e32 vcc_lo, 0xf800000, v56
	v_cndmask_b32_e32 v61, v56, v61, vcc_lo
	s_delay_alu instid0(VALU_DEP_1) | instskip(SKIP_1) | instid1(TRANS32_DEP_1)
	v_sqrt_f32_e32 v62, v61
	v_nop
	v_dual_add_nc_u32 v65, -1, v62 :: v_dual_add_nc_u32 v66, 1, v62
	s_delay_alu instid0(VALU_DEP_1) | instskip(NEXT) | instid1(VALU_DEP_1)
	v_dual_fma_f32 v67, -v65, v62, v61 :: v_dual_fma_f32 v68, -v66, v62, v61
	v_cmp_ge_f32_e64 s5, 0, v67
	s_delay_alu instid0(VALU_DEP_1) | instskip(NEXT) | instid1(VALU_DEP_3)
	v_cndmask_b32_e64 v62, v62, v65, s5
	v_cmp_lt_f32_e64 s5, 0, v68
	s_delay_alu instid0(VALU_DEP_1) | instskip(NEXT) | instid1(VALU_DEP_1)
	v_cndmask_b32_e64 v62, v62, v66, s5
	v_mul_f32_e32 v65, 0x37800000, v62
	s_delay_alu instid0(VALU_DEP_1) | instskip(SKIP_1) | instid1(VALU_DEP_2)
	v_cndmask_b32_e32 v62, v62, v65, vcc_lo
	v_cmp_class_f32_e64 vcc_lo, v61, 0x260
	v_cndmask_b32_e32 v61, v62, v61, vcc_lo
	s_delay_alu instid0(VALU_DEP_1) | instskip(SKIP_1) | instid1(VALU_DEP_2)
	v_div_scale_f32 v62, null, s34, s34, v61
	v_div_scale_f32 v67, vcc_lo, v61, s34, v61
	v_rcp_f32_e32 v65, v62
	v_nop
	s_delay_alu instid0(TRANS32_DEP_1) | instskip(NEXT) | instid1(VALU_DEP_1)
	v_fma_f32 v66, -v62, v65, 1.0
	v_fmac_f32_e32 v65, v66, v65
	s_delay_alu instid0(VALU_DEP_1) | instskip(NEXT) | instid1(VALU_DEP_1)
	v_mul_f32_e32 v66, v67, v65
	v_fma_f32 v68, -v62, v66, v67
	s_delay_alu instid0(VALU_DEP_1) | instskip(NEXT) | instid1(VALU_DEP_1)
	v_fmac_f32_e32 v66, v68, v65
	v_fma_f32 v62, -v62, v66, v67
	s_delay_alu instid0(VALU_DEP_1) | instskip(NEXT) | instid1(VALU_DEP_1)
	v_div_fmas_f32 v62, v62, v65, v66
	v_div_fixup_f32 v61, v62, s34, v61
	v_mul_f32_e32 v62, v45, v64
	s_delay_alu instid0(VALU_DEP_2) | instskip(NEXT) | instid1(VALU_DEP_1)
	v_add_f32_e32 v61, v61, v47
	v_div_scale_f32 v65, null, v61, v61, v62
	s_delay_alu instid0(VALU_DEP_1) | instskip(SKIP_1) | instid1(TRANS32_DEP_1)
	v_rcp_f32_e32 v66, v65
	v_nop
	v_fma_f32 v67, -v65, v66, 1.0
	s_delay_alu instid0(VALU_DEP_1) | instskip(SKIP_1) | instid1(VALU_DEP_1)
	v_fmac_f32_e32 v66, v67, v66
	v_div_scale_f32 v67, vcc_lo, v62, v61, v62
	v_mul_f32_e32 v68, v67, v66
	s_delay_alu instid0(VALU_DEP_1) | instskip(NEXT) | instid1(VALU_DEP_1)
	v_fma_f32 v69, -v65, v68, v67
	v_fmac_f32_e32 v68, v69, v66
	s_delay_alu instid0(VALU_DEP_1) | instskip(SKIP_1) | instid1(VALU_DEP_2)
	v_fma_f32 v65, -v65, v68, v67
	v_fma_f32 v67, -v48, v55, v55
	v_div_fmas_f32 v65, v65, v66, v68
	s_delay_alu instid0(VALU_DEP_2) | instskip(SKIP_1) | instid1(VALU_DEP_3)
	v_cndmask_b32_e64 v55, v55, v67, s0
	v_add_nc_u64_e32 v[66:67], s[6:7], v[26:27]
	v_div_fixup_f32 v61, v65, v61, v62
	s_delay_alu instid0(VALU_DEP_1) | instskip(NEXT) | instid1(VALU_DEP_1)
	v_sub_f32_e32 v55, v55, v61
	v_cvt_f16_f32_e32 v55, v55
	global_store_b16 v[66:67], v55, off
.LBB3_56:                               ;   in Loop: Header=BB3_26 Depth=1
	s_wait_xcnt 0x0
	s_or_b32 exec_lo, exec_lo, s17
	v_cndmask_b32_e64 v55, v52, -v52, s33
	s_delay_alu instid0(VALU_DEP_1) | instskip(NEXT) | instid1(VALU_DEP_1)
	v_fma_f32 v61, -v46, v55, v55
	v_fmac_f32_e32 v61, v46, v59
	v_mul_f32_e32 v62, v55, v55
	s_delay_alu instid0(VALU_DEP_1) | instskip(NEXT) | instid1(VALU_DEP_1)
	v_fma_f32 v55, -v44, v62, v62
	v_fmac_f32_e32 v55, v44, v58
	s_and_saveexec_b32 s17, s4
	s_cbranch_execz .LBB3_58
; %bb.57:                               ;   in Loop: Header=BB3_26 Depth=1
	s_delay_alu instid0(VALU_DEP_1) | instskip(SKIP_1) | instid1(VALU_DEP_1)
	v_cmp_gt_f32_e32 vcc_lo, 0xf800000, v55
	v_mul_f32_e32 v58, 0x4f800000, v55
	v_cndmask_b32_e32 v58, v55, v58, vcc_lo
	s_delay_alu instid0(VALU_DEP_1) | instskip(SKIP_1) | instid1(TRANS32_DEP_1)
	v_sqrt_f32_e32 v59, v58
	v_nop
	v_dual_add_nc_u32 v62, -1, v59 :: v_dual_add_nc_u32 v65, 1, v59
	s_delay_alu instid0(VALU_DEP_1) | instskip(NEXT) | instid1(VALU_DEP_1)
	v_fma_f32 v66, -v62, v59, v58
	v_cmp_ge_f32_e64 s5, 0, v66
	s_delay_alu instid0(VALU_DEP_1) | instskip(NEXT) | instid1(VALU_DEP_1)
	v_dual_fma_f32 v67, -v65, v59, v58 :: v_dual_cndmask_b32 v59, v59, v62, s5
	v_cmp_lt_f32_e64 s5, 0, v67
	s_delay_alu instid0(VALU_DEP_1) | instskip(NEXT) | instid1(VALU_DEP_1)
	v_cndmask_b32_e64 v59, v59, v65, s5
	v_mul_f32_e32 v62, 0x37800000, v59
	s_delay_alu instid0(VALU_DEP_1) | instskip(SKIP_1) | instid1(VALU_DEP_2)
	v_cndmask_b32_e32 v59, v59, v62, vcc_lo
	v_cmp_class_f32_e64 vcc_lo, v58, 0x260
	v_cndmask_b32_e32 v58, v59, v58, vcc_lo
	s_delay_alu instid0(VALU_DEP_1) | instskip(SKIP_1) | instid1(VALU_DEP_2)
	v_div_scale_f32 v59, null, s34, s34, v58
	v_div_scale_f32 v66, vcc_lo, v58, s34, v58
	v_rcp_f32_e32 v62, v59
	v_nop
	s_delay_alu instid0(TRANS32_DEP_1) | instskip(NEXT) | instid1(VALU_DEP_1)
	v_fma_f32 v65, -v59, v62, 1.0
	v_fmac_f32_e32 v62, v65, v62
	s_delay_alu instid0(VALU_DEP_1) | instskip(NEXT) | instid1(VALU_DEP_1)
	v_mul_f32_e32 v65, v66, v62
	v_fma_f32 v67, -v59, v65, v66
	s_delay_alu instid0(VALU_DEP_1) | instskip(NEXT) | instid1(VALU_DEP_1)
	v_fmac_f32_e32 v65, v67, v62
	v_fma_f32 v59, -v59, v65, v66
	s_delay_alu instid0(VALU_DEP_1) | instskip(NEXT) | instid1(VALU_DEP_1)
	v_div_fmas_f32 v59, v59, v62, v65
	v_div_fixup_f32 v58, v59, s34, v58
	s_delay_alu instid0(VALU_DEP_1) | instskip(NEXT) | instid1(VALU_DEP_1)
	v_dual_mul_f32 v59, v45, v61 :: v_dual_add_f32 v58, v58, v47
	v_div_scale_f32 v62, null, v58, v58, v59
	s_delay_alu instid0(VALU_DEP_1) | instskip(SKIP_1) | instid1(TRANS32_DEP_1)
	v_rcp_f32_e32 v65, v62
	v_nop
	v_fma_f32 v66, -v62, v65, 1.0
	s_delay_alu instid0(VALU_DEP_1) | instskip(SKIP_1) | instid1(VALU_DEP_1)
	v_fmac_f32_e32 v65, v66, v65
	v_div_scale_f32 v66, vcc_lo, v59, v58, v59
	v_mul_f32_e32 v67, v66, v65
	s_delay_alu instid0(VALU_DEP_1) | instskip(NEXT) | instid1(VALU_DEP_1)
	v_fma_f32 v68, -v62, v67, v66
	v_fmac_f32_e32 v67, v68, v65
	s_delay_alu instid0(VALU_DEP_1) | instskip(NEXT) | instid1(VALU_DEP_1)
	v_dual_fma_f32 v62, -v62, v67, v66 :: v_dual_fma_f32 v66, -v48, v53, v53
	v_div_fmas_f32 v62, v62, v65, v67
	s_delay_alu instid0(VALU_DEP_2) | instskip(NEXT) | instid1(VALU_DEP_2)
	v_cndmask_b32_e64 v53, v53, v66, s0
	v_div_fixup_f32 v58, v62, v58, v59
	s_delay_alu instid0(VALU_DEP_1) | instskip(SKIP_1) | instid1(VALU_DEP_2)
	v_sub_f32_e32 v53, v53, v58
	v_add_nc_u64_e32 v[58:59], s[6:7], v[14:15]
	v_cvt_f16_f32_e32 v53, v53
	global_store_b16 v[58:59], v53, off
.LBB3_58:                               ;   in Loop: Header=BB3_26 Depth=1
	s_wait_xcnt 0x0
	s_or_b32 exec_lo, exec_lo, s17
	s_delay_alu instid0(SALU_CYCLE_1)
	s_and_not1_b32 vcc_lo, exec_lo, s16
	s_cbranch_vccnz .LBB3_65
; %bb.59:                               ;   in Loop: Header=BB3_26 Depth=1
	s_and_saveexec_b32 s5, s1
	s_cbranch_execnz .LBB3_81
; %bb.60:                               ;   in Loop: Header=BB3_26 Depth=1
	s_or_b32 exec_lo, exec_lo, s5
	s_and_saveexec_b32 s5, s2
	s_cbranch_execnz .LBB3_82
.LBB3_61:                               ;   in Loop: Header=BB3_26 Depth=1
	s_or_b32 exec_lo, exec_lo, s5
	s_and_saveexec_b32 s5, s3
	s_cbranch_execnz .LBB3_83
.LBB3_62:                               ;   in Loop: Header=BB3_26 Depth=1
	s_or_b32 exec_lo, exec_lo, s5
	s_and_saveexec_b32 s5, s4
	s_cbranch_execz .LBB3_64
.LBB3_63:                               ;   in Loop: Header=BB3_26 Depth=1
	v_add_nc_u64_e32 v[50:51], s[6:7], v[16:17]
	v_cvt_f16_f32_e32 v49, v52
	global_store_b16 v[50:51], v49, off
.LBB3_64:                               ;   in Loop: Header=BB3_26 Depth=1
	s_wait_xcnt 0x0
	s_or_b32 exec_lo, exec_lo, s5
.LBB3_65:                               ;   in Loop: Header=BB3_26 Depth=1
	s_and_saveexec_b32 s5, s1
	s_cbranch_execnz .LBB3_73
; %bb.66:                               ;   in Loop: Header=BB3_26 Depth=1
	s_or_b32 exec_lo, exec_lo, s5
	s_and_saveexec_b32 s5, s2
	s_cbranch_execnz .LBB3_74
.LBB3_67:                               ;   in Loop: Header=BB3_26 Depth=1
	s_or_b32 exec_lo, exec_lo, s5
	s_and_saveexec_b32 s5, s3
	s_cbranch_execnz .LBB3_75
.LBB3_68:                               ;   in Loop: Header=BB3_26 Depth=1
	s_or_b32 exec_lo, exec_lo, s5
	s_and_saveexec_b32 s5, s4
	s_cbranch_execnz .LBB3_76
.LBB3_69:                               ;   in Loop: Header=BB3_26 Depth=1
	s_or_b32 exec_lo, exec_lo, s5
	s_and_saveexec_b32 s5, s1
	s_cbranch_execnz .LBB3_77
.LBB3_70:                               ;   in Loop: Header=BB3_26 Depth=1
	s_or_b32 exec_lo, exec_lo, s5
	s_and_saveexec_b32 s1, s2
	s_cbranch_execnz .LBB3_78
.LBB3_71:                               ;   in Loop: Header=BB3_26 Depth=1
	s_or_b32 exec_lo, exec_lo, s1
	s_and_saveexec_b32 s1, s3
	s_cbranch_execnz .LBB3_79
.LBB3_72:                               ;   in Loop: Header=BB3_26 Depth=1
	s_or_b32 exec_lo, exec_lo, s1
	s_and_saveexec_b32 s1, s4
	s_cbranch_execz .LBB3_25
	s_branch .LBB3_80
.LBB3_73:                               ;   in Loop: Header=BB3_26 Depth=1
	v_add_nc_u64_e32 v[50:51], s[6:7], v[10:11]
	v_cvt_f16_f32_e32 v49, v57
	global_store_b16 v[50:51], v49, off
	s_wait_xcnt 0x0
	s_or_b32 exec_lo, exec_lo, s5
	s_and_saveexec_b32 s5, s2
	s_cbranch_execz .LBB3_67
.LBB3_74:                               ;   in Loop: Header=BB3_26 Depth=1
	v_add_nc_u64_e32 v[50:51], s[6:7], v[40:41]
	v_cvt_f16_f32_e32 v49, v63
	global_store_b16 v[50:51], v49, off
	s_wait_xcnt 0x0
	s_or_b32 exec_lo, exec_lo, s5
	s_and_saveexec_b32 s5, s3
	s_cbranch_execz .LBB3_68
.LBB3_75:                               ;   in Loop: Header=BB3_26 Depth=1
	v_add_nc_u64_e32 v[50:51], s[6:7], v[30:31]
	v_cvt_f16_f32_e32 v49, v64
	global_store_b16 v[50:51], v49, off
	s_wait_xcnt 0x0
	s_or_b32 exec_lo, exec_lo, s5
	s_and_saveexec_b32 s5, s4
	s_cbranch_execz .LBB3_69
.LBB3_76:                               ;   in Loop: Header=BB3_26 Depth=1
	v_add_nc_u64_e32 v[50:51], s[6:7], v[18:19]
	v_cvt_f16_f32_e32 v49, v61
	global_store_b16 v[50:51], v49, off
	s_wait_xcnt 0x0
	s_or_b32 exec_lo, exec_lo, s5
	s_and_saveexec_b32 s5, s1
	s_cbranch_execz .LBB3_70
.LBB3_77:                               ;   in Loop: Header=BB3_26 Depth=1
	v_add_nc_u64_e32 v[50:51], s[6:7], v[12:13]
	v_cvt_f16_f32_e32 v49, v54
	global_store_b16 v[50:51], v49, off
	s_wait_xcnt 0x0
	s_or_b32 exec_lo, exec_lo, s5
	s_and_saveexec_b32 s1, s2
	s_cbranch_execz .LBB3_71
.LBB3_78:                               ;   in Loop: Header=BB3_26 Depth=1
	v_add_nc_u64_e32 v[50:51], s[6:7], v[42:43]
	v_cvt_f16_f32_e32 v49, v60
	global_store_b16 v[50:51], v49, off
	s_wait_xcnt 0x0
	s_or_b32 exec_lo, exec_lo, s1
	s_and_saveexec_b32 s1, s3
	s_cbranch_execz .LBB3_72
.LBB3_79:                               ;   in Loop: Header=BB3_26 Depth=1
	v_add_nc_u64_e32 v[50:51], s[6:7], v[32:33]
	v_cvt_f16_f32_e32 v49, v56
	global_store_b16 v[50:51], v49, off
	s_wait_xcnt 0x0
	s_or_b32 exec_lo, exec_lo, s1
	s_and_saveexec_b32 s1, s4
	s_cbranch_execz .LBB3_25
.LBB3_80:                               ;   in Loop: Header=BB3_26 Depth=1
	v_add_nc_u64_e32 v[50:51], s[6:7], v[22:23]
	v_cvt_f16_f32_e32 v49, v55
	global_store_b16 v[50:51], v49, off
	s_branch .LBB3_25
.LBB3_81:                               ;   in Loop: Header=BB3_26 Depth=1
	v_add_nc_u64_e32 v[58:59], s[6:7], v[8:9]
	v_cvt_f16_f32_e32 v49, v49
	global_store_b16 v[58:59], v49, off
	s_wait_xcnt 0x0
	s_or_b32 exec_lo, exec_lo, s5
	s_and_saveexec_b32 s5, s2
	s_cbranch_execz .LBB3_61
.LBB3_82:                               ;   in Loop: Header=BB3_26 Depth=1
	v_add_nc_u64_e32 v[58:59], s[6:7], v[38:39]
	v_cvt_f16_f32_e32 v49, v50
	global_store_b16 v[58:59], v49, off
	s_wait_xcnt 0x0
	s_or_b32 exec_lo, exec_lo, s5
	s_and_saveexec_b32 s5, s3
	s_cbranch_execz .LBB3_62
.LBB3_83:                               ;   in Loop: Header=BB3_26 Depth=1
	v_add_nc_u64_e32 v[58:59], s[6:7], v[28:29]
	v_cvt_f16_f32_e32 v49, v51
	global_store_b16 v[58:59], v49, off
	s_wait_xcnt 0x0
	s_or_b32 exec_lo, exec_lo, s5
	s_and_saveexec_b32 s5, s4
	s_cbranch_execnz .LBB3_63
	s_branch .LBB3_64
.LBB3_84:
	s_sendmsg sendmsg(MSG_DEALLOC_VGPRS)
	s_endpgm
	.section	.rodata,"a",@progbits
	.p2align	6, 0x0
	.amdhsa_kernel _ZN2at6native12_GLOBAL__N_125multi_tensor_apply_kernelINS1_32FusedOptimizerTensorListMetadataILi4EEENS1_20FusedAdamMathFunctorIN3c104HalfELi4ELNS0_9ADAM_MODEE1ELb0EEEJPKfdddddbSB_SB_EEEvT_T0_DpT1_
		.amdhsa_group_segment_fixed_size 0
		.amdhsa_private_segment_fixed_size 0
		.amdhsa_kernarg_size 3672
		.amdhsa_user_sgpr_count 2
		.amdhsa_user_sgpr_dispatch_ptr 0
		.amdhsa_user_sgpr_queue_ptr 0
		.amdhsa_user_sgpr_kernarg_segment_ptr 1
		.amdhsa_user_sgpr_dispatch_id 0
		.amdhsa_user_sgpr_kernarg_preload_length 0
		.amdhsa_user_sgpr_kernarg_preload_offset 0
		.amdhsa_user_sgpr_private_segment_size 0
		.amdhsa_wavefront_size32 1
		.amdhsa_uses_dynamic_stack 0
		.amdhsa_enable_private_segment 0
		.amdhsa_system_sgpr_workgroup_id_x 1
		.amdhsa_system_sgpr_workgroup_id_y 0
		.amdhsa_system_sgpr_workgroup_id_z 0
		.amdhsa_system_sgpr_workgroup_info 0
		.amdhsa_system_vgpr_workitem_id 0
		.amdhsa_next_free_vgpr 72
		.amdhsa_next_free_sgpr 38
		.amdhsa_named_barrier_count 0
		.amdhsa_reserve_vcc 1
		.amdhsa_float_round_mode_32 0
		.amdhsa_float_round_mode_16_64 0
		.amdhsa_float_denorm_mode_32 3
		.amdhsa_float_denorm_mode_16_64 3
		.amdhsa_fp16_overflow 0
		.amdhsa_memory_ordered 1
		.amdhsa_forward_progress 1
		.amdhsa_inst_pref_size 80
		.amdhsa_round_robin_scheduling 0
		.amdhsa_exception_fp_ieee_invalid_op 0
		.amdhsa_exception_fp_denorm_src 0
		.amdhsa_exception_fp_ieee_div_zero 0
		.amdhsa_exception_fp_ieee_overflow 0
		.amdhsa_exception_fp_ieee_underflow 0
		.amdhsa_exception_fp_ieee_inexact 0
		.amdhsa_exception_int_div_zero 0
	.end_amdhsa_kernel
	.section	.text._ZN2at6native12_GLOBAL__N_125multi_tensor_apply_kernelINS1_32FusedOptimizerTensorListMetadataILi4EEENS1_20FusedAdamMathFunctorIN3c104HalfELi4ELNS0_9ADAM_MODEE1ELb0EEEJPKfdddddbSB_SB_EEEvT_T0_DpT1_,"axG",@progbits,_ZN2at6native12_GLOBAL__N_125multi_tensor_apply_kernelINS1_32FusedOptimizerTensorListMetadataILi4EEENS1_20FusedAdamMathFunctorIN3c104HalfELi4ELNS0_9ADAM_MODEE1ELb0EEEJPKfdddddbSB_SB_EEEvT_T0_DpT1_,comdat
.Lfunc_end3:
	.size	_ZN2at6native12_GLOBAL__N_125multi_tensor_apply_kernelINS1_32FusedOptimizerTensorListMetadataILi4EEENS1_20FusedAdamMathFunctorIN3c104HalfELi4ELNS0_9ADAM_MODEE1ELb0EEEJPKfdddddbSB_SB_EEEvT_T0_DpT1_, .Lfunc_end3-_ZN2at6native12_GLOBAL__N_125multi_tensor_apply_kernelINS1_32FusedOptimizerTensorListMetadataILi4EEENS1_20FusedAdamMathFunctorIN3c104HalfELi4ELNS0_9ADAM_MODEE1ELb0EEEJPKfdddddbSB_SB_EEEvT_T0_DpT1_
                                        ; -- End function
	.set _ZN2at6native12_GLOBAL__N_125multi_tensor_apply_kernelINS1_32FusedOptimizerTensorListMetadataILi4EEENS1_20FusedAdamMathFunctorIN3c104HalfELi4ELNS0_9ADAM_MODEE1ELb0EEEJPKfdddddbSB_SB_EEEvT_T0_DpT1_.num_vgpr, 72
	.set _ZN2at6native12_GLOBAL__N_125multi_tensor_apply_kernelINS1_32FusedOptimizerTensorListMetadataILi4EEENS1_20FusedAdamMathFunctorIN3c104HalfELi4ELNS0_9ADAM_MODEE1ELb0EEEJPKfdddddbSB_SB_EEEvT_T0_DpT1_.num_agpr, 0
	.set _ZN2at6native12_GLOBAL__N_125multi_tensor_apply_kernelINS1_32FusedOptimizerTensorListMetadataILi4EEENS1_20FusedAdamMathFunctorIN3c104HalfELi4ELNS0_9ADAM_MODEE1ELb0EEEJPKfdddddbSB_SB_EEEvT_T0_DpT1_.numbered_sgpr, 38
	.set _ZN2at6native12_GLOBAL__N_125multi_tensor_apply_kernelINS1_32FusedOptimizerTensorListMetadataILi4EEENS1_20FusedAdamMathFunctorIN3c104HalfELi4ELNS0_9ADAM_MODEE1ELb0EEEJPKfdddddbSB_SB_EEEvT_T0_DpT1_.num_named_barrier, 0
	.set _ZN2at6native12_GLOBAL__N_125multi_tensor_apply_kernelINS1_32FusedOptimizerTensorListMetadataILi4EEENS1_20FusedAdamMathFunctorIN3c104HalfELi4ELNS0_9ADAM_MODEE1ELb0EEEJPKfdddddbSB_SB_EEEvT_T0_DpT1_.private_seg_size, 0
	.set _ZN2at6native12_GLOBAL__N_125multi_tensor_apply_kernelINS1_32FusedOptimizerTensorListMetadataILi4EEENS1_20FusedAdamMathFunctorIN3c104HalfELi4ELNS0_9ADAM_MODEE1ELb0EEEJPKfdddddbSB_SB_EEEvT_T0_DpT1_.uses_vcc, 1
	.set _ZN2at6native12_GLOBAL__N_125multi_tensor_apply_kernelINS1_32FusedOptimizerTensorListMetadataILi4EEENS1_20FusedAdamMathFunctorIN3c104HalfELi4ELNS0_9ADAM_MODEE1ELb0EEEJPKfdddddbSB_SB_EEEvT_T0_DpT1_.uses_flat_scratch, 0
	.set _ZN2at6native12_GLOBAL__N_125multi_tensor_apply_kernelINS1_32FusedOptimizerTensorListMetadataILi4EEENS1_20FusedAdamMathFunctorIN3c104HalfELi4ELNS0_9ADAM_MODEE1ELb0EEEJPKfdddddbSB_SB_EEEvT_T0_DpT1_.has_dyn_sized_stack, 0
	.set _ZN2at6native12_GLOBAL__N_125multi_tensor_apply_kernelINS1_32FusedOptimizerTensorListMetadataILi4EEENS1_20FusedAdamMathFunctorIN3c104HalfELi4ELNS0_9ADAM_MODEE1ELb0EEEJPKfdddddbSB_SB_EEEvT_T0_DpT1_.has_recursion, 0
	.set _ZN2at6native12_GLOBAL__N_125multi_tensor_apply_kernelINS1_32FusedOptimizerTensorListMetadataILi4EEENS1_20FusedAdamMathFunctorIN3c104HalfELi4ELNS0_9ADAM_MODEE1ELb0EEEJPKfdddddbSB_SB_EEEvT_T0_DpT1_.has_indirect_call, 0
	.section	.AMDGPU.csdata,"",@progbits
; Kernel info:
; codeLenInByte = 10160
; TotalNumSgprs: 40
; NumVgprs: 72
; ScratchSize: 0
; MemoryBound: 0
; FloatMode: 240
; IeeeMode: 1
; LDSByteSize: 0 bytes/workgroup (compile time only)
; SGPRBlocks: 0
; VGPRBlocks: 4
; NumSGPRsForWavesPerEU: 40
; NumVGPRsForWavesPerEU: 72
; NamedBarCnt: 0
; Occupancy: 12
; WaveLimiterHint : 0
; COMPUTE_PGM_RSRC2:SCRATCH_EN: 0
; COMPUTE_PGM_RSRC2:USER_SGPR: 2
; COMPUTE_PGM_RSRC2:TRAP_HANDLER: 0
; COMPUTE_PGM_RSRC2:TGID_X_EN: 1
; COMPUTE_PGM_RSRC2:TGID_Y_EN: 0
; COMPUTE_PGM_RSRC2:TGID_Z_EN: 0
; COMPUTE_PGM_RSRC2:TIDIG_COMP_CNT: 0
	.section	.text._ZN2at6native12_GLOBAL__N_125multi_tensor_apply_kernelINS1_32FusedOptimizerTensorListMetadataILi4EEENS1_20FusedAdamMathFunctorIN3c108BFloat16ELi4ELNS0_9ADAM_MODEE1ELb0EEEJPKfdddddbSB_SB_EEEvT_T0_DpT1_,"axG",@progbits,_ZN2at6native12_GLOBAL__N_125multi_tensor_apply_kernelINS1_32FusedOptimizerTensorListMetadataILi4EEENS1_20FusedAdamMathFunctorIN3c108BFloat16ELi4ELNS0_9ADAM_MODEE1ELb0EEEJPKfdddddbSB_SB_EEEvT_T0_DpT1_,comdat
	.globl	_ZN2at6native12_GLOBAL__N_125multi_tensor_apply_kernelINS1_32FusedOptimizerTensorListMetadataILi4EEENS1_20FusedAdamMathFunctorIN3c108BFloat16ELi4ELNS0_9ADAM_MODEE1ELb0EEEJPKfdddddbSB_SB_EEEvT_T0_DpT1_ ; -- Begin function _ZN2at6native12_GLOBAL__N_125multi_tensor_apply_kernelINS1_32FusedOptimizerTensorListMetadataILi4EEENS1_20FusedAdamMathFunctorIN3c108BFloat16ELi4ELNS0_9ADAM_MODEE1ELb0EEEJPKfdddddbSB_SB_EEEvT_T0_DpT1_
	.p2align	8
	.type	_ZN2at6native12_GLOBAL__N_125multi_tensor_apply_kernelINS1_32FusedOptimizerTensorListMetadataILi4EEENS1_20FusedAdamMathFunctorIN3c108BFloat16ELi4ELNS0_9ADAM_MODEE1ELb0EEEJPKfdddddbSB_SB_EEEvT_T0_DpT1_,@function
_ZN2at6native12_GLOBAL__N_125multi_tensor_apply_kernelINS1_32FusedOptimizerTensorListMetadataILi4EEENS1_20FusedAdamMathFunctorIN3c108BFloat16ELi4ELNS0_9ADAM_MODEE1ELb0EEEJPKfdddddbSB_SB_EEEvT_T0_DpT1_: ; @_ZN2at6native12_GLOBAL__N_125multi_tensor_apply_kernelINS1_32FusedOptimizerTensorListMetadataILi4EEENS1_20FusedAdamMathFunctorIN3c108BFloat16ELi4ELNS0_9ADAM_MODEE1ELb0EEEJPKfdddddbSB_SB_EEEvT_T0_DpT1_
; %bb.0:
	s_bfe_u32 s2, ttmp6, 0x4000c
	s_and_b32 s3, ttmp6, 15
	s_add_co_i32 s2, s2, 1
	s_getreg_b32 s4, hwreg(HW_REG_IB_STS2, 6, 4)
	s_mul_i32 s2, ttmp9, s2
	s_delay_alu instid0(SALU_CYCLE_1)
	s_add_co_i32 s3, s3, s2
	s_cmp_eq_u32 s4, 0
	s_cselect_b32 s2, ttmp9, s3
	s_mov_b32 s3, 0
	v_mov_b32_e32 v1, s2
	global_load_u8 v1, v1, s[0:1] offset:1728
	s_clause 0x1
	s_load_b256 s[4:11], s[0:1], 0xd10
	s_load_b128 s[16:19], s[0:1], 0xd30
	s_wait_kmcnt 0x0
	s_cmp_eq_u64 s[4:5], 0
	s_wait_loadcnt 0x0
	v_readfirstlane_b32 s20, v1
	s_cbranch_scc1 .LBB4_28
; %bb.1:
	s_load_b32 s4, s[4:5], 0x0
	s_wait_xcnt 0x0
	s_wait_kmcnt 0x0
	v_mov_b32_e32 v48, s4
	s_cbranch_execnz .LBB4_3
.LBB4_2:
	v_cvt_f32_f64_e32 v48, s[6:7]
.LBB4_3:
	s_load_b128 s[12:15], s[0:1], 0xd48
	s_wait_kmcnt 0x0
	s_cmp_eq_u64 s[14:15], 0
	s_cselect_b32 s4, -1, 0
	s_delay_alu instid0(SALU_CYCLE_1)
	s_and_b32 vcc_lo, exec_lo, s4
	s_cbranch_vccnz .LBB4_5
; %bb.4:
	s_load_b32 s4, s[14:15], 0x0
	s_wait_kmcnt 0x0
	s_cmp_neq_f32 s4, 1.0
	s_cselect_b32 s4, -1, 0
.LBB4_5:
	s_delay_alu instid0(SALU_CYCLE_1)
	s_and_not1_b32 vcc_lo, exec_lo, s4
	s_cbranch_vccnz .LBB4_100
; %bb.6:
	v_cvt_f32_f64_e32 v2, s[10:11]
	s_and_b32 s6, s20, 0xff
	s_clause 0x2
	s_load_b64 s[4:5], s[0:1], s6 offset:0x5a0 scale_offset
	s_load_b32 s7, s[0:1], 0xd40
	s_load_b64 s[24:25], s[0:1], s6 offset:0x480 scale_offset
	v_cvt_f32_f64_e32 v49, s[16:17]
	v_cvt_f32_f64_e32 v56, s[18:19]
	s_wait_kmcnt 0x0
	s_load_b32 s10, s[4:5], 0x0
	s_wait_xcnt 0x0
	s_delay_alu instid0(VALU_DEP_3) | instskip(SKIP_3) | instid1(SALU_CYCLE_1)
	v_readfirstlane_b32 s5, v2
	s_cmp_neq_f32 s5, 1.0
	s_wait_kmcnt 0x0
	s_cselect_b32 s4, s10, 1.0
	s_cmp_neq_f32 s4, 0
	s_cselect_b32 s5, s5, 1.0
	s_delay_alu instid0(SALU_CYCLE_1) | instskip(SKIP_1) | instid1(VALU_DEP_2)
	v_frexp_mant_f32_e64 v3, |s5|
	v_cvt_f64_f32_e64 v[4:5], |s5|
	v_readfirstlane_b32 s11, v3
	s_cmp_lt_f32 s11, 0x3f2aaaab
	s_cselect_b32 vcc_lo, -1, 0
	s_delay_alu instid0(SALU_CYCLE_1) | instskip(SKIP_1) | instid1(SALU_CYCLE_1)
	s_and_b32 s14, vcc_lo, exec_lo
	s_cselect_b32 s14, 2.0, 1.0
	s_mul_f32 s11, s11, s14
	s_delay_alu instid0(SALU_CYCLE_3) | instskip(SKIP_1) | instid1(SALU_CYCLE_2)
	s_add_f32 s14, s11, 1.0
	s_add_f32 s20, s11, -1.0
	v_s_rcp_f32 s15, s14
	s_add_f32 s23, s14, -1.0
	s_delay_alu instid0(SALU_CYCLE_3) | instskip(SKIP_1) | instid1(TRANS32_DEP_1)
	s_sub_f32 s11, s11, s23
	v_frexp_exp_i32_f64_e32 v1, v[4:5]
	s_mul_f32 s21, s20, s15
	s_delay_alu instid0(SALU_CYCLE_3) | instskip(NEXT) | instid1(SALU_CYCLE_3)
	s_mul_f32 s22, s14, s21
	v_dual_mov_b32 v5, s20 :: v_dual_mov_b32 v6, s22
	s_xor_b32 s26, s22, 0x80000000
	s_delay_alu instid0(SALU_CYCLE_1) | instskip(NEXT) | instid1(SALU_CYCLE_3)
	s_fmac_f32 s26, s21, s14
	s_fmac_f32 s26, s21, s11
	s_delay_alu instid0(SALU_CYCLE_3) | instskip(NEXT) | instid1(SALU_CYCLE_3)
	s_add_f32 s11, s22, s26
	v_dual_mov_b32 v8, s26 :: v_dual_mov_b32 v9, s11
	s_sub_f32 s14, s20, s11
	s_delay_alu instid0(SALU_CYCLE_3) | instskip(NEXT) | instid1(VALU_DEP_4)
	v_dual_mov_b32 v4, s11 :: v_dual_mov_b32 v7, s14
	v_subrev_co_ci_u32_e64 v1, null, 0, v1, vcc_lo
	s_delay_alu instid0(VALU_DEP_2) | instskip(NEXT) | instid1(VALU_DEP_2)
	v_pk_add_f32 v[4:5], v[4:5], v[6:7] neg_lo:[0,1] neg_hi:[0,1]
	v_cvt_f32_i32_e32 v1, v1
	s_delay_alu instid0(VALU_DEP_2) | instskip(NEXT) | instid1(VALU_DEP_1)
	v_pk_add_f32 v[4:5], v[4:5], v[8:9] neg_lo:[0,1] neg_hi:[0,1]
	v_readfirstlane_b32 s11, v5
	s_delay_alu instid0(VALU_DEP_2) | instskip(SKIP_1) | instid1(SALU_CYCLE_3)
	v_readfirstlane_b32 s20, v4
	s_add_f32 s11, s20, s11
	s_add_f32 s11, s14, s11
	s_delay_alu instid0(SALU_CYCLE_3) | instskip(NEXT) | instid1(SALU_CYCLE_3)
	s_mul_f32 s11, s15, s11
	s_add_f32 s14, s21, s11
	s_delay_alu instid0(SALU_CYCLE_3) | instskip(SKIP_1) | instid1(SALU_CYCLE_2)
	s_sub_f32 s15, s14, s21
	s_mul_f32 s21, s14, s14
	s_sub_f32 s22, s11, s15
	s_delay_alu instid0(SALU_CYCLE_2) | instskip(NEXT) | instid1(SALU_CYCLE_1)
	s_xor_b32 s15, s21, 0x80000000
	s_fmac_f32 s15, s14, s14
	s_delay_alu instid0(SALU_CYCLE_1) | instskip(NEXT) | instid1(SALU_CYCLE_3)
	s_add_f32 s11, s22, s22
	s_fmac_f32 s15, s14, s11
	s_mov_b32 s11, 0x3e76c4e1
	s_delay_alu instid0(SALU_CYCLE_2) | instskip(NEXT) | instid1(SALU_CYCLE_3)
	s_add_f32 s20, s21, s15
	s_fmaak_f32 s23, s20, s11, 0x3e91f4c4
	s_sub_f32 s21, s20, s21
	s_delay_alu instid0(SALU_CYCLE_2) | instskip(NEXT) | instid1(SALU_CYCLE_2)
	s_fmaak_f32 s23, s20, s23, 0x3ecccdef
	s_sub_f32 s28, s15, s21
	s_delay_alu instid0(SALU_CYCLE_2) | instskip(NEXT) | instid1(SALU_CYCLE_3)
	s_mul_f32 s26, s20, s23
	s_xor_b32 s27, s26, 0x80000000
	s_delay_alu instid0(SALU_CYCLE_1) | instskip(NEXT) | instid1(SALU_CYCLE_3)
	s_fmac_f32 s27, s20, s23
	s_fmac_f32 s27, s28, s23
	s_delay_alu instid0(SALU_CYCLE_3) | instskip(NEXT) | instid1(SALU_CYCLE_3)
	s_add_f32 s21, s26, s27
	s_sub_f32 s15, s21, s26
	s_add_f32 s23, s21, 0x3f2aaaaa
	s_delay_alu instid0(SALU_CYCLE_2) | instskip(NEXT) | instid1(SALU_CYCLE_2)
	s_sub_f32 s15, s27, s15
	s_add_f32 s26, s23, 0xbf2aaaaa
	s_delay_alu instid0(SALU_CYCLE_2) | instskip(NEXT) | instid1(SALU_CYCLE_2)
	s_add_f32 s15, s15, 0x31739010
	s_sub_f32 s21, s21, s26
	s_delay_alu instid0(SALU_CYCLE_2) | instskip(NEXT) | instid1(SALU_CYCLE_2)
	v_mov_b64_e32 v[4:5], s[14:15]
	v_mov_b64_e32 v[6:7], s[20:21]
	s_delay_alu instid0(VALU_DEP_1) | instskip(SKIP_2) | instid1(VALU_DEP_3)
	v_pk_mul_f32 v[8:9], v[4:5], v[6:7]
	v_pk_add_f32 v[4:5], v[4:5], v[6:7]
	v_mov_b32_e32 v11, s23
	v_xor_b32_e32 v10, 0x80000000, v8
	s_delay_alu instid0(VALU_DEP_3) | instskip(NEXT) | instid1(VALU_DEP_2)
	v_mov_b32_e32 v9, v5
	v_fmac_f32_e64 v10, s20, s14
	s_delay_alu instid0(VALU_DEP_1) | instskip(NEXT) | instid1(VALU_DEP_1)
	v_fmac_f32_e64 v10, s20, s22
	v_fmac_f32_e64 v10, s28, s14
	s_delay_alu instid0(VALU_DEP_1) | instskip(NEXT) | instid1(VALU_DEP_1)
	v_pk_add_f32 v[6:7], v[8:9], v[10:11]
	v_dual_mul_f32 v14, 0x3f317218, v1 :: v_dual_sub_f32 v9, v6, v8
	s_delay_alu instid0(VALU_DEP_2) | instskip(NEXT) | instid1(VALU_DEP_2)
	v_dual_mov_b32 v4, v7 :: v_dual_sub_f32 v3, s23, v7
	v_xor_b32_e32 v8, 0x80000000, v14
	s_delay_alu instid0(VALU_DEP_2) | instskip(NEXT) | instid1(VALU_DEP_3)
	v_pk_mul_f32 v[12:13], v[6:7], v[4:5]
	v_dual_add_f32 v3, v5, v3 :: v_dual_sub_f32 v5, v10, v9
	v_ldexp_f32 v9, s14, 1
	s_delay_alu instid0(VALU_DEP_3) | instskip(NEXT) | instid1(VALU_DEP_1)
	v_xor_b32_e32 v4, 0x80000000, v12
	v_dual_mov_b32 v13, v9 :: v_dual_fmac_f32 v4, v6, v7
	s_delay_alu instid0(VALU_DEP_1) | instskip(NEXT) | instid1(VALU_DEP_1)
	v_fmac_f32_e32 v4, v6, v3
	v_fmac_f32_e32 v4, v5, v7
	s_delay_alu instid0(VALU_DEP_1) | instskip(NEXT) | instid1(VALU_DEP_1)
	v_dual_fmac_f32 v8, 0x3f317218, v1 :: v_dual_add_f32 v15, v12, v4
	v_fmac_f32_e32 v8, 0xb102e308, v1
	v_ldexp_f32 v1, s22, 1
	s_delay_alu instid0(VALU_DEP_3) | instskip(NEXT) | instid1(VALU_DEP_3)
	v_mov_b32_e32 v5, v15
	v_pk_add_f32 v[6:7], v[14:15], v[8:9]
	s_delay_alu instid0(VALU_DEP_1) | instskip(NEXT) | instid1(VALU_DEP_2)
	v_dual_mov_b32 v10, v15 :: v_dual_mov_b32 v11, v7
	v_dual_mov_b32 v9, v6 :: v_dual_mov_b32 v16, v7
	s_delay_alu instid0(VALU_DEP_2) | instskip(NEXT) | instid1(VALU_DEP_1)
	v_pk_add_f32 v[10:11], v[10:11], v[12:13] neg_lo:[0,1] neg_hi:[0,1]
	v_pk_add_f32 v[4:5], v[4:5], v[10:11] neg_lo:[0,1] neg_hi:[0,1]
	s_delay_alu instid0(VALU_DEP_1) | instskip(NEXT) | instid1(VALU_DEP_1)
	v_add_f32_e32 v1, v1, v4
	v_add_f32_e32 v15, v1, v5
	s_delay_alu instid0(VALU_DEP_1) | instskip(SKIP_1) | instid1(VALU_DEP_2)
	v_pk_add_f32 v[4:5], v[6:7], v[14:15]
	v_pk_add_f32 v[10:11], v[6:7], v[14:15] neg_lo:[0,1] neg_hi:[0,1]
	v_mov_b32_e32 v11, v5
	s_delay_alu instid0(VALU_DEP_1) | instskip(NEXT) | instid1(VALU_DEP_1)
	v_pk_add_f32 v[12:13], v[8:9], v[10:11]
	v_dual_mov_b32 v18, v5 :: v_dual_mov_b32 v19, v13
	v_mov_b32_e32 v14, v13
	v_pk_add_f32 v[8:9], v[8:9], v[10:11] neg_lo:[0,1] neg_hi:[0,1]
	s_delay_alu instid0(VALU_DEP_2) | instskip(SKIP_1) | instid1(VALU_DEP_3)
	v_pk_add_f32 v[10:11], v[14:15], v[6:7] neg_lo:[0,1] neg_hi:[0,1]
	v_dual_mov_b32 v7, v6 :: v_dual_mov_b32 v6, v15
	v_readfirstlane_b32 s14, v8
	s_delay_alu instid0(VALU_DEP_3) | instskip(NEXT) | instid1(VALU_DEP_2)
	v_dual_mov_b32 v17, v10 :: v_dual_mov_b32 v1, v10
	v_mov_b32_e32 v12, s14
	s_delay_alu instid0(VALU_DEP_2) | instskip(NEXT) | instid1(VALU_DEP_3)
	v_pk_add_f32 v[8:9], v[18:19], v[16:17] neg_lo:[0,1] neg_hi:[0,1]
	v_pk_add_f32 v[4:5], v[4:5], v[0:1] neg_lo:[0,1] neg_hi:[0,1]
	v_mov_b32_e32 v4, s14
	s_delay_alu instid0(VALU_DEP_3) | instskip(NEXT) | instid1(VALU_DEP_1)
	v_pk_add_f32 v[6:7], v[6:7], v[8:9] neg_lo:[0,1] neg_hi:[0,1]
	v_pk_add_f32 v[4:5], v[4:5], v[6:7]
	s_delay_alu instid0(VALU_DEP_1) | instskip(NEXT) | instid1(VALU_DEP_2)
	v_readfirstlane_b32 s15, v4
	v_mov_b32_e32 v8, v5
	s_delay_alu instid0(VALU_DEP_1) | instskip(NEXT) | instid1(VALU_DEP_3)
	v_pk_add_f32 v[8:9], v[4:5], v[8:9]
	v_mov_b32_e32 v4, s15
	s_delay_alu instid0(VALU_DEP_2) | instskip(SKIP_1) | instid1(VALU_DEP_2)
	v_pk_add_f32 v[10:11], v[14:15], v[8:9]
	v_mov_b32_e32 v7, v8
	v_readfirstlane_b32 s20, v10
	s_delay_alu instid0(VALU_DEP_1) | instskip(NEXT) | instid1(VALU_DEP_1)
	v_mov_b32_e32 v5, s20
	v_pk_add_f32 v[4:5], v[4:5], v[12:13] neg_lo:[0,1] neg_hi:[0,1]
	s_delay_alu instid0(VALU_DEP_1) | instskip(NEXT) | instid1(VALU_DEP_2)
	v_readfirstlane_b32 s21, v4
	v_pk_add_f32 v[4:5], v[6:7], v[4:5] neg_lo:[0,1] neg_hi:[0,1]
	s_sub_f32 s15, s15, s21
	s_delay_alu instid0(VALU_DEP_1) | instskip(NEXT) | instid1(SALU_CYCLE_2)
	v_readfirstlane_b32 s21, v4
	s_sub_f32 s14, s14, s15
	v_readfirstlane_b32 s15, v5
	s_delay_alu instid0(SALU_CYCLE_2) | instskip(NEXT) | instid1(SALU_CYCLE_3)
	s_add_f32 s14, s21, s14
	s_add_f32 s14, s14, s15
	s_delay_alu instid0(SALU_CYCLE_3) | instskip(NEXT) | instid1(SALU_CYCLE_3)
	s_add_f32 s15, s20, s14
	s_mul_f32 s21, s4, s15
	s_sub_f32 s20, s15, s20
	s_delay_alu instid0(SALU_CYCLE_2) | instskip(NEXT) | instid1(SALU_CYCLE_2)
	s_xor_b32 s22, s21, 0x80000000
	s_sub_f32 s14, s14, s20
	s_fmac_f32 s22, s4, s15
	s_delay_alu instid0(SALU_CYCLE_3) | instskip(SKIP_1) | instid1(SALU_CYCLE_2)
	s_fmac_f32 s22, s4, s14
	v_cmp_class_f32_e64 s14, s21, 0x204
	s_add_f32 s15, s21, s22
	s_and_b32 s14, s14, exec_lo
	s_delay_alu instid0(SALU_CYCLE_2) | instskip(SKIP_1) | instid1(SALU_CYCLE_1)
	s_sub_f32 s14, s15, s21
	s_cselect_b32 s15, s21, s15
	s_and_b32 s20, s15, 0x7fffffff
	s_delay_alu instid0(SALU_CYCLE_1) | instskip(SKIP_1) | instid1(SALU_CYCLE_2)
	s_sub_f32 s14, s22, s14
	s_cmp_neq_f32 s20, 0x7f800000
	s_cselect_b32 s14, s14, 0
	s_cmp_eq_f32 s15, 0x42b17218
	s_cselect_b32 s20, 0x37000000, 0
	s_delay_alu instid0(SALU_CYCLE_1) | instskip(SKIP_1) | instid1(SALU_CYCLE_2)
	s_sub_f32 s15, s15, s20
	s_add_f32 s14, s20, s14
	s_mul_f32 s21, s15, 0x3fb8aa3b
	s_delay_alu instid0(SALU_CYCLE_3) | instskip(SKIP_3) | instid1(SALU_CYCLE_1)
	s_xor_b32 s22, s21, 0x80000000
	s_rndne_f32 s23, s21
	s_fmamk_f32 s22, s15, 0x3fb8aa3b, s22
	s_cmp_nlt_f32 s15, 0xc2ce8ed0
	s_sub_f32 s21, s21, s23
	s_delay_alu instid0(SALU_CYCLE_1)
	s_fmamk_f32 s22, s15, 0x32a5705f, s22
	s_cselect_b32 vcc_lo, -1, 0
	s_cmp_ngt_f32 s15, 0x42b17218
	s_trunc_f32 s15, s4
	s_add_f32 s21, s21, s22
	s_cvt_i32_f32 s22, s23
	s_delay_alu instid0(SALU_CYCLE_2)
	v_s_exp_f32 s21, s21
	v_nop
	s_delay_alu instid0(TRANS32_DEP_1) | instid1(SALU_CYCLE_1)
	v_ldexp_f32 v1, s21, s22
	s_mul_f32 s21, s4, 0.5
	s_delay_alu instid0(VALU_DEP_1) | instskip(SKIP_3) | instid1(VALU_DEP_1)
	v_cndmask_b32_e32 v1, 0, v1, vcc_lo
	s_cselect_b32 vcc_lo, -1, 0
	s_cmp_eq_f32 s15, s4
	s_trunc_f32 s22, s21
	v_cndmask_b32_e32 v1, 0x7f800000, v1, vcc_lo
	s_cselect_b32 s20, -1, 0
	s_delay_alu instid0(SALU_CYCLE_1) | instskip(NEXT) | instid1(VALU_DEP_1)
	s_cmp_neq_f32 s22, s21
	v_fma_f32 v3, s14, v1, v1
	v_cmp_class_f32_e64 vcc_lo, v1, 0x204
	s_cselect_b32 s14, -1, 0
	s_delay_alu instid0(SALU_CYCLE_1)
	s_and_b32 s14, s20, s14
	v_cndmask_b32_e32 v1, v3, v1, vcc_lo
	s_and_b32 s20, s14, exec_lo
	s_cselect_b32 s20, s5, 1.0
	s_cmp_eq_f32 s15, s4
	v_cvt_f32_f64_e32 v3, s[8:9]
	v_bfi_b32 v1, 0x7fffffff, v1, s20
	s_cselect_b32 s20, -1, 0
	s_delay_alu instid0(SALU_CYCLE_1) | instskip(NEXT) | instid1(VALU_DEP_1)
	s_and_b32 s20, s20, exec_lo
	v_readfirstlane_b32 s15, v1
	s_cselect_b32 s20, s15, 0x7fc00000
	s_and_b32 s21, s5, 0x7fffffff
	s_cmp_lt_f32 s5, 0
	s_cselect_b32 s15, s20, s15
	s_and_b32 s20, s4, 0x7fffffff
	s_delay_alu instid0(SALU_CYCLE_1) | instskip(SKIP_3) | instid1(SALU_CYCLE_1)
	s_cmp_neq_f32 s4, s20
	s_cselect_b32 s20, -1, 0
	s_cmp_lt_f32 s21, 1.0
	s_cselect_b32 s22, -1, 0
	s_xor_b32 s20, s20, s22
	v_cmp_class_f32_e64 s22, s4, 0x204
	s_and_b32 s20, s20, exec_lo
	s_cselect_b32 s20, 0, 0x7f800000
	s_cmp_neq_f32 s21, 1.0
	s_cselect_b32 s20, s20, 1.0
	s_and_b32 s21, s22, exec_lo
	s_cselect_b32 s15, s20, s15
	s_cmp_eq_f32 s5, 0
	v_cmp_class_f32_e64 s20, s5, 0x204
	s_cselect_b32 s21, -1, 0
	s_delay_alu instid0(SALU_CYCLE_1) | instskip(SKIP_2) | instid1(SALU_CYCLE_1)
	s_or_b32 s20, s21, s20
	s_cmp_lt_f32 s4, 0
	s_cselect_b32 s22, -1, 0
	s_xor_b32 s21, s22, s21
	s_delay_alu instid0(SALU_CYCLE_1)
	s_and_b32 s21, s21, exec_lo
	s_cselect_b32 s21, 0, 0x7f800000
	s_and_b32 s14, s14, exec_lo
	s_cselect_b32 s14, s5, 0
	s_and_b32 s20, s20, exec_lo
	v_mov_b32_e32 v1, s14
	s_delay_alu instid0(VALU_DEP_1) | instskip(NEXT) | instid1(VALU_DEP_1)
	v_bfi_b32 v1, 0x7fffffff, s21, v1
	v_readfirstlane_b32 s14, v1
	s_cselect_b32 s14, s14, s15
	s_cmp_o_f32 s5, s4
	s_sub_f32 s4, 1.0, s14
	s_delay_alu instid0(SALU_CYCLE_3) | instskip(NEXT) | instid1(SALU_CYCLE_1)
	s_cselect_b32 s5, s4, 0x7fc00000
	s_mul_f32 s4, s5, 0x4f800000
	s_cmp_lt_f32 s5, 0xf800000
	s_delay_alu instid0(SALU_CYCLE_2) | instskip(NEXT) | instid1(SALU_CYCLE_1)
	s_cselect_b32 s4, s4, s5
	v_s_sqrt_f32 s8, s4
	s_mov_b32 s14, s4
	s_delay_alu instid0(TRANS32_DEP_1) | instskip(NEXT) | instid1(SALU_CYCLE_1)
	s_add_co_i32 s9, s8, -1
	s_xor_b32 s15, s9, 0x80000000
	s_delay_alu instid0(SALU_CYCLE_1) | instskip(SKIP_1) | instid1(SALU_CYCLE_2)
	s_fmac_f32 s14, s15, s8
	s_mov_b32 s15, s4
	s_cmp_le_f32 s14, 0
	s_cselect_b32 s9, s9, s8
	s_add_co_i32 s14, s8, 1
	s_delay_alu instid0(SALU_CYCLE_1) | instskip(NEXT) | instid1(SALU_CYCLE_1)
	s_xor_b32 s20, s14, 0x80000000
	s_fmac_f32 s15, s20, s8
	s_delay_alu instid0(SALU_CYCLE_3) | instskip(SKIP_4) | instid1(SALU_CYCLE_3)
	s_cmp_gt_f32 s15, 0
	v_readfirstlane_b32 s15, v3
	s_cselect_b32 s8, s14, s9
	s_cmp_lt_f32 s5, 0xf800000
	s_mul_f32 s5, s8, 0x37800000
	s_cselect_b32 s5, s5, s8
	s_cmp_neq_f32 s15, 1.0
	s_cselect_b32 s8, s10, 1.0
	s_delay_alu instid0(SALU_CYCLE_1) | instskip(SKIP_1) | instid1(SALU_CYCLE_1)
	s_cmp_neq_f32 s8, 0
	s_cselect_b32 s9, s15, 1.0
	v_cvt_f64_f32_e64 v[4:5], |s9|
	s_delay_alu instid0(VALU_DEP_1) | instskip(SKIP_1) | instid1(VALU_DEP_1)
	v_frexp_exp_i32_f64_e32 v1, v[4:5]
	v_frexp_mant_f32_e64 v4, |s9|
	v_readfirstlane_b32 s10, v4
	s_cmp_lt_f32 s10, 0x3f2aaaab
	s_cselect_b32 vcc_lo, -1, 0
	s_delay_alu instid0(SALU_CYCLE_1) | instskip(SKIP_1) | instid1(SALU_CYCLE_1)
	s_and_b32 s14, vcc_lo, exec_lo
	s_cselect_b32 s14, 2.0, 1.0
	s_mul_f32 s10, s10, s14
	s_delay_alu instid0(SALU_CYCLE_3) | instskip(SKIP_1) | instid1(SALU_CYCLE_2)
	s_add_f32 s14, s10, 1.0
	s_add_f32 s20, s10, -1.0
	v_s_rcp_f32 s15, s14
	s_add_f32 s23, s14, -1.0
	s_delay_alu instid0(SALU_CYCLE_1) | instskip(SKIP_1) | instid1(SALU_CYCLE_1)
	v_mov_b32_e32 v5, s20
	v_subrev_co_ci_u32_e64 v1, null, 0, v1, vcc_lo
	s_sub_f32 s10, s10, s23
	s_delay_alu instid0(TRANS32_DEP_1) | instskip(SKIP_1) | instid1(SALU_CYCLE_2)
	s_mul_f32 s21, s20, s15
	v_cvt_f32_i32_e32 v1, v1
	s_mul_f32 s22, s14, s21
	s_delay_alu instid0(VALU_DEP_1) | instskip(NEXT) | instid1(SALU_CYCLE_2)
	v_mul_f32_e32 v14, 0x3f317218, v1
	s_xor_b32 s26, s22, 0x80000000
	v_mov_b32_e32 v6, s22
	s_fmac_f32 s26, s21, s14
	s_delay_alu instid0(SALU_CYCLE_3) | instskip(NEXT) | instid1(SALU_CYCLE_3)
	s_fmac_f32 s26, s21, s10
	s_add_f32 s10, s22, s26
	s_delay_alu instid0(SALU_CYCLE_3) | instskip(SKIP_1) | instid1(SALU_CYCLE_3)
	v_dual_mov_b32 v8, s26 :: v_dual_mov_b32 v9, s10
	s_sub_f32 s14, s20, s10
	v_dual_mov_b32 v4, s10 :: v_dual_mov_b32 v7, s14
	s_delay_alu instid0(VALU_DEP_1) | instskip(NEXT) | instid1(VALU_DEP_1)
	v_pk_add_f32 v[4:5], v[4:5], v[6:7] neg_lo:[0,1] neg_hi:[0,1]
	v_pk_add_f32 v[4:5], v[4:5], v[8:9] neg_lo:[0,1] neg_hi:[0,1]
	s_delay_alu instid0(VALU_DEP_1) | instskip(NEXT) | instid1(VALU_DEP_2)
	v_readfirstlane_b32 s10, v5
	v_readfirstlane_b32 s20, v4
	s_add_f32 s10, s20, s10
	s_delay_alu instid0(SALU_CYCLE_3) | instskip(NEXT) | instid1(SALU_CYCLE_3)
	s_add_f32 s10, s14, s10
	s_mul_f32 s14, s15, s10
	s_delay_alu instid0(SALU_CYCLE_3) | instskip(NEXT) | instid1(SALU_CYCLE_3)
	s_add_f32 s10, s21, s14
	s_sub_f32 s15, s10, s21
	s_mul_f32 s20, s10, s10
	s_delay_alu instid0(SALU_CYCLE_2) | instskip(NEXT) | instid1(SALU_CYCLE_2)
	s_sub_f32 s21, s14, s15
	s_xor_b32 s15, s20, 0x80000000
	s_delay_alu instid0(SALU_CYCLE_1) | instskip(NEXT) | instid1(SALU_CYCLE_1)
	s_fmac_f32 s15, s10, s10
	s_add_f32 s14, s21, s21
	s_delay_alu instid0(SALU_CYCLE_3) | instskip(NEXT) | instid1(SALU_CYCLE_3)
	s_fmac_f32 s15, s10, s14
	s_add_f32 s14, s20, s15
	s_delay_alu instid0(SALU_CYCLE_3) | instskip(SKIP_1) | instid1(SALU_CYCLE_2)
	s_fmaak_f32 s11, s14, s11, 0x3e91f4c4
	s_sub_f32 s20, s14, s20
	s_fmaak_f32 s11, s14, s11, 0x3ecccdef
	s_delay_alu instid0(SALU_CYCLE_2) | instskip(NEXT) | instid1(SALU_CYCLE_2)
	s_sub_f32 s20, s15, s20
	s_mul_f32 s22, s14, s11
	s_delay_alu instid0(SALU_CYCLE_3) | instskip(NEXT) | instid1(SALU_CYCLE_1)
	s_xor_b32 s23, s22, 0x80000000
	s_fmac_f32 s23, s14, s11
	s_delay_alu instid0(SALU_CYCLE_3) | instskip(NEXT) | instid1(SALU_CYCLE_3)
	s_fmac_f32 s23, s20, s11
	s_add_f32 s15, s22, s23
	s_delay_alu instid0(SALU_CYCLE_3) | instskip(SKIP_1) | instid1(SALU_CYCLE_2)
	s_sub_f32 s11, s15, s22
	s_add_f32 s22, s15, 0x3f2aaaaa
	s_sub_f32 s11, s23, s11
	s_delay_alu instid0(SALU_CYCLE_2) | instskip(NEXT) | instid1(SALU_CYCLE_2)
	s_add_f32 s23, s22, 0xbf2aaaaa
	s_add_f32 s11, s11, 0x31739010
	s_delay_alu instid0(SALU_CYCLE_2) | instskip(NEXT) | instid1(SALU_CYCLE_2)
	s_sub_f32 s15, s15, s23
	v_mov_b64_e32 v[4:5], s[10:11]
	s_delay_alu instid0(SALU_CYCLE_2) | instskip(NEXT) | instid1(VALU_DEP_1)
	v_mov_b64_e32 v[6:7], s[14:15]
	v_pk_mul_f32 v[8:9], v[4:5], v[6:7]
	v_pk_add_f32 v[4:5], v[4:5], v[6:7]
	v_mov_b32_e32 v11, s22
	s_delay_alu instid0(VALU_DEP_3) | instskip(NEXT) | instid1(VALU_DEP_3)
	v_xor_b32_e32 v10, 0x80000000, v8
	v_mov_b32_e32 v9, v5
	s_delay_alu instid0(VALU_DEP_2) | instskip(NEXT) | instid1(VALU_DEP_1)
	v_fmac_f32_e64 v10, s14, s10
	v_fmac_f32_e64 v10, s14, s21
	s_delay_alu instid0(VALU_DEP_1) | instskip(NEXT) | instid1(VALU_DEP_1)
	v_fmac_f32_e64 v10, s20, s10
	v_pk_add_f32 v[6:7], v[8:9], v[10:11]
	s_delay_alu instid0(VALU_DEP_1) | instskip(NEXT) | instid1(VALU_DEP_2)
	v_dual_mov_b32 v4, v7 :: v_dual_sub_f32 v9, s22, v7
	v_sub_f32_e32 v11, v6, v8
	v_xor_b32_e32 v8, 0x80000000, v14
	s_delay_alu instid0(VALU_DEP_3) | instskip(NEXT) | instid1(VALU_DEP_3)
	v_pk_mul_f32 v[12:13], v[6:7], v[4:5]
	v_dual_add_f32 v5, v5, v9 :: v_dual_sub_f32 v9, v10, v11
	s_delay_alu instid0(VALU_DEP_3) | instskip(NEXT) | instid1(VALU_DEP_3)
	v_fmac_f32_e32 v8, 0x3f317218, v1
	v_xor_b32_e32 v4, 0x80000000, v12
	s_delay_alu instid0(VALU_DEP_1) | instskip(NEXT) | instid1(VALU_DEP_1)
	v_fmac_f32_e32 v4, v6, v7
	v_fmac_f32_e32 v4, v6, v5
	s_delay_alu instid0(VALU_DEP_1) | instskip(SKIP_3) | instid1(VALU_DEP_2)
	v_fmac_f32_e32 v4, v9, v7
	v_fmac_f32_e32 v8, 0xb102e308, v1
	v_ldexp_f32 v9, s10, 1
	v_ldexp_f32 v1, s21, 1
	v_dual_add_f32 v15, v12, v4 :: v_dual_mov_b32 v13, v9
	s_delay_alu instid0(VALU_DEP_1) | instskip(SKIP_1) | instid1(VALU_DEP_2)
	v_pk_add_f32 v[6:7], v[14:15], v[8:9]
	v_dual_mov_b32 v10, v15 :: v_dual_mov_b32 v5, v15
	v_dual_mov_b32 v11, v7 :: v_dual_mov_b32 v9, v6
	s_delay_alu instid0(VALU_DEP_1) | instskip(NEXT) | instid1(VALU_DEP_1)
	v_pk_add_f32 v[10:11], v[10:11], v[12:13] neg_lo:[0,1] neg_hi:[0,1]
	v_pk_add_f32 v[4:5], v[4:5], v[10:11] neg_lo:[0,1] neg_hi:[0,1]
	s_delay_alu instid0(VALU_DEP_1) | instskip(NEXT) | instid1(VALU_DEP_1)
	v_add_f32_e32 v1, v1, v4
	v_add_f32_e32 v15, v1, v5
	s_delay_alu instid0(VALU_DEP_1) | instskip(SKIP_1) | instid1(VALU_DEP_2)
	v_pk_add_f32 v[4:5], v[6:7], v[14:15]
	v_pk_add_f32 v[10:11], v[6:7], v[14:15] neg_lo:[0,1] neg_hi:[0,1]
	v_dual_mov_b32 v16, v7 :: v_dual_mov_b32 v18, v5
	v_mov_b32_e32 v11, v5
	s_delay_alu instid0(VALU_DEP_1) | instskip(NEXT) | instid1(VALU_DEP_1)
	v_pk_add_f32 v[12:13], v[8:9], v[10:11]
	v_mov_b32_e32 v14, v13
	v_pk_add_f32 v[8:9], v[8:9], v[10:11] neg_lo:[0,1] neg_hi:[0,1]
	s_delay_alu instid0(VALU_DEP_2) | instskip(SKIP_1) | instid1(VALU_DEP_3)
	v_pk_add_f32 v[10:11], v[14:15], v[6:7] neg_lo:[0,1] neg_hi:[0,1]
	v_mov_b32_e32 v19, v13
	v_readfirstlane_b32 s10, v8
	v_dual_mov_b32 v7, v6 :: v_dual_mov_b32 v6, v15
	s_delay_alu instid0(VALU_DEP_4) | instskip(NEXT) | instid1(VALU_DEP_3)
	v_dual_mov_b32 v17, v10 :: v_dual_mov_b32 v1, v10
	v_mov_b32_e32 v12, s10
	s_delay_alu instid0(VALU_DEP_2) | instskip(NEXT) | instid1(VALU_DEP_3)
	v_pk_add_f32 v[8:9], v[18:19], v[16:17] neg_lo:[0,1] neg_hi:[0,1]
	v_pk_add_f32 v[4:5], v[4:5], v[0:1] neg_lo:[0,1] neg_hi:[0,1]
	v_mov_b32_e32 v4, s10
	s_delay_alu instid0(VALU_DEP_3) | instskip(NEXT) | instid1(VALU_DEP_1)
	v_pk_add_f32 v[6:7], v[6:7], v[8:9] neg_lo:[0,1] neg_hi:[0,1]
	v_pk_add_f32 v[4:5], v[4:5], v[6:7]
	s_delay_alu instid0(VALU_DEP_1) | instskip(NEXT) | instid1(VALU_DEP_2)
	v_mov_b32_e32 v8, v5
	v_readfirstlane_b32 s11, v4
	s_delay_alu instid0(VALU_DEP_2) | instskip(NEXT) | instid1(VALU_DEP_1)
	v_pk_add_f32 v[8:9], v[4:5], v[8:9]
	v_pk_add_f32 v[10:11], v[14:15], v[8:9]
	v_mov_b32_e32 v7, v8
	s_delay_alu instid0(VALU_DEP_2) | instskip(NEXT) | instid1(VALU_DEP_1)
	v_readfirstlane_b32 s14, v10
	v_dual_mov_b32 v4, s11 :: v_dual_mov_b32 v5, s14
	s_delay_alu instid0(VALU_DEP_1) | instskip(NEXT) | instid1(VALU_DEP_1)
	v_pk_add_f32 v[4:5], v[4:5], v[12:13] neg_lo:[0,1] neg_hi:[0,1]
	v_readfirstlane_b32 s15, v4
	s_delay_alu instid0(VALU_DEP_2) | instskip(SKIP_1) | instid1(VALU_DEP_1)
	v_pk_add_f32 v[4:5], v[6:7], v[4:5] neg_lo:[0,1] neg_hi:[0,1]
	s_sub_f32 s11, s11, s15
	v_readfirstlane_b32 s15, v4
	s_delay_alu instid0(SALU_CYCLE_2) | instskip(SKIP_1) | instid1(SALU_CYCLE_2)
	s_sub_f32 s10, s10, s11
	v_readfirstlane_b32 s11, v5
	s_add_f32 s10, s15, s10
	s_delay_alu instid0(SALU_CYCLE_3) | instskip(NEXT) | instid1(SALU_CYCLE_3)
	s_add_f32 s10, s10, s11
	s_add_f32 s11, s14, s10
	s_delay_alu instid0(SALU_CYCLE_3) | instskip(SKIP_1) | instid1(SALU_CYCLE_2)
	s_mul_f32 s15, s8, s11
	s_sub_f32 s14, s11, s14
	s_xor_b32 s20, s15, 0x80000000
	s_delay_alu instid0(SALU_CYCLE_2) | instskip(SKIP_1) | instid1(SALU_CYCLE_3)
	s_sub_f32 s10, s10, s14
	s_fmac_f32 s20, s8, s11
	s_fmac_f32 s20, s8, s10
	v_cmp_class_f32_e64 s10, s15, 0x204
	s_delay_alu instid0(SALU_CYCLE_2) | instskip(SKIP_1) | instid1(SALU_CYCLE_2)
	s_add_f32 s11, s15, s20
	s_and_b32 s10, s10, exec_lo
	s_sub_f32 s10, s11, s15
	s_cselect_b32 s11, s15, s11
	s_delay_alu instid0(SALU_CYCLE_1) | instskip(NEXT) | instid1(SALU_CYCLE_1)
	s_and_b32 s14, s11, 0x7fffffff
	s_sub_f32 s10, s20, s10
	s_cmp_neq_f32 s14, 0x7f800000
	s_delay_alu instid0(SALU_CYCLE_2) | instskip(SKIP_2) | instid1(SALU_CYCLE_1)
	s_cselect_b32 s10, s10, 0
	s_cmp_eq_f32 s11, 0x42b17218
	s_cselect_b32 s14, 0x37000000, 0
	s_sub_f32 s11, s11, s14
	s_add_f32 s10, s14, s10
	s_delay_alu instid0(SALU_CYCLE_2) | instskip(NEXT) | instid1(SALU_CYCLE_3)
	s_mul_f32 s15, s11, 0x3fb8aa3b
	s_xor_b32 s20, s15, 0x80000000
	s_rndne_f32 s21, s15
	s_fmamk_f32 s20, s11, 0x3fb8aa3b, s20
	s_cmp_nlt_f32 s11, 0xc2ce8ed0
	s_delay_alu instid0(SALU_CYCLE_1) | instskip(NEXT) | instid1(SALU_CYCLE_1)
	s_sub_f32 s15, s15, s21
	s_fmamk_f32 s20, s11, 0x32a5705f, s20
	s_cselect_b32 vcc_lo, -1, 0
	s_cmp_ngt_f32 s11, 0x42b17218
	s_trunc_f32 s11, s8
	s_add_f32 s15, s15, s20
	s_cvt_i32_f32 s20, s21
	s_delay_alu instid0(SALU_CYCLE_2)
	v_s_exp_f32 s15, s15
	v_nop
	s_delay_alu instid0(TRANS32_DEP_1) | instid1(SALU_CYCLE_1)
	v_ldexp_f32 v1, s15, s20
	s_mul_f32 s15, s8, 0.5
	s_delay_alu instid0(VALU_DEP_1) | instskip(SKIP_3) | instid1(VALU_DEP_1)
	v_cndmask_b32_e32 v1, 0, v1, vcc_lo
	s_cselect_b32 vcc_lo, -1, 0
	s_cmp_eq_f32 s11, s8
	s_trunc_f32 s20, s15
	v_cndmask_b32_e32 v1, 0x7f800000, v1, vcc_lo
	s_cselect_b32 s21, -1, 0
	s_delay_alu instid0(SALU_CYCLE_1) | instskip(NEXT) | instid1(VALU_DEP_1)
	s_cmp_neq_f32 s20, s15
	v_fma_f32 v4, s10, v1, v1
	s_cselect_b32 s14, -1, 0
	v_cmp_class_f32_e64 vcc_lo, v1, 0x204
	s_and_b32 s14, s21, s14
	s_delay_alu instid0(SALU_CYCLE_1)
	s_and_b32 s10, s14, exec_lo
	s_cselect_b32 s10, s9, 1.0
	s_cmp_eq_f32 s11, s8
	v_cndmask_b32_e32 v1, v4, v1, vcc_lo
	s_cselect_b32 vcc_lo, -1, 0
	s_bitcmp1_b32 s7, 0
	s_delay_alu instid0(VALU_DEP_1) | instskip(SKIP_3) | instid1(VALU_DEP_1)
	v_bfi_b32 v1, 0x7fffffff, v1, s10
	s_cselect_b32 s26, -1, 0
	s_and_b32 s7, s9, 0x7fffffff
	s_cmp_lt_f32 s9, 0
	v_cndmask_b32_e32 v4, 0x7fc00000, v1, vcc_lo
	s_cselect_b32 vcc_lo, -1, 0
	s_and_b32 s10, s8, 0x7fffffff
	s_delay_alu instid0(SALU_CYCLE_1) | instskip(NEXT) | instid1(VALU_DEP_1)
	s_cmp_neq_f32 s8, s10
	v_cndmask_b32_e32 v1, v1, v4, vcc_lo
	s_cselect_b32 s10, -1, 0
	s_cmp_lt_f32 s7, 1.0
	s_cselect_b32 s11, -1, 0
	s_delay_alu instid0(SALU_CYCLE_1)
	s_xor_b32 s10, s10, s11
	v_cmp_class_f32_e64 s11, s8, 0x204
	s_and_b32 s10, s10, exec_lo
	s_cselect_b32 s10, 0, 0x7f800000
	s_cmp_neq_f32 s7, 1.0
	s_cselect_b32 s7, s10, 1.0
	s_cmp_eq_f32 s9, 0
	v_cmp_class_f32_e64 s10, s9, 0x204
	v_cndmask_b32_e64 v1, v1, s7, s11
	s_cselect_b32 s15, -1, 0
	s_delay_alu instid0(SALU_CYCLE_1)
	s_or_b32 vcc_lo, s15, s10
	s_cmp_lt_f32 s8, 0
	s_add_nc_u64 s[10:11], s[0:1], s[2:3]
	s_mul_u64 s[2:3], s[2:3], 3
	s_cselect_b32 s7, -1, 0
	s_add_nc_u64 s[2:3], s[10:11], s[2:3]
	s_xor_b32 s7, s7, s15
	s_load_b32 s2, s[2:3], 0x800
	s_and_b32 s7, s7, exec_lo
	s_cselect_b32 s7, 0, 0x7f800000
	s_and_b32 s10, s14, exec_lo
	s_cselect_b32 s10, s9, 0
	s_wait_xcnt 0x0
	v_cmp_class_f32_e64 s3, s4, 0x260
	v_mov_b32_e32 v4, s10
	s_clause 0x3
	s_load_b64 s[10:11], s[0:1], s6 offset:0x120 scale_offset
	s_load_b64 s[14:15], s[0:1], s6 offset:0x0 scale_offset
	;; [unrolled: 1-line block ×4, first 2 shown]
	s_cmp_o_f32 s9, s8
	s_mov_b32 s9, 0
	v_bfi_b32 v4, 0x7fffffff, s7, v4
	s_delay_alu instid0(VALU_DEP_1)
	v_cndmask_b32_e32 v1, v1, v4, vcc_lo
	s_cselect_b32 vcc_lo, -1, 0
	s_and_b32 s3, s3, exec_lo
	s_cselect_b32 s27, s4, s5
	s_wait_kmcnt 0x0
	s_ashr_i32 s3, s2, 31
	v_sub_f32_e32 v1, 1.0, v1
	s_lshl_b64 s[6:7], s[2:3], 17
	s_delay_alu instid0(SALU_CYCLE_1)
	s_add_nc_u64 s[4:5], s[10:11], s[6:7]
	s_and_b64 s[16:17], s[14:15], 7
	s_and_b32 s8, s4, 7
	s_lshl_b64 s[4:5], s[2:3], 16
	s_cmp_lg_u64 s[8:9], 0
	s_add_nc_u64 s[2:3], s[20:21], s[6:7]
	s_cselect_b32 s8, -1, 0
	s_or_b32 s2, s22, s2
	v_cndmask_b32_e32 v50, 0x7fc00000, v1, vcc_lo
	s_and_b32 s2, s2, 7
	s_delay_alu instid0(SALU_CYCLE_1)
	s_cmp_lg_u32 s2, 0
	s_cselect_b32 s9, -1, 0
	s_and_b64 s[2:3], s[24:25], 3
	s_or_b32 s8, s9, s8
	s_or_b64 s[2:3], s[16:17], s[2:3]
	s_sub_nc_u64 s[16:17], s[24:25], s[4:5]
	s_cmp_lg_u64 s[2:3], 0
	s_cselect_b32 s2, -1, 0
	s_delay_alu instid0(SALU_CYCLE_1)
	s_or_b32 s3, s8, s2
	s_mov_b32 s2, -1
	s_and_not1_b32 vcc_lo, exec_lo, s3
	s_cbranch_vccz .LBB4_30
; %bb.7:
	v_min_i64 v[4:5], 0x10000, s[16:17]
	v_dual_mov_b32 v7, 0 :: v_dual_lshlrev_b32 v6, 2, v0
	s_mov_b32 s24, exec_lo
	s_delay_alu instid0(VALU_DEP_1)
	v_cmpx_lt_i64_e64 v[6:7], v[4:5]
	s_cbranch_execz .LBB4_29
; %bb.8:
	v_div_scale_f32 v1, null, v50, v50, v48
	v_div_scale_f32 v9, vcc_lo, v48, v50, v48
	s_load_b32 s3, s[0:1], 0xd64
	v_rcp_f32_e32 v8, v1
	v_xor_b32_e32 v6, 0x80000000, v1
	s_cmp_lg_u64 s[12:13], 0
	v_cmp_neq_f32_e64 s2, 0, v49
	s_mov_b32 s9, 0
	s_cselect_b32 s25, -1, 0
	s_mov_b32 s19, s9
	v_fma_f32 v1, v6, v8, 1.0
	s_mov_b32 s28, s9
	s_delay_alu instid0(VALU_DEP_1) | instskip(NEXT) | instid1(VALU_DEP_1)
	v_dual_mul_f32 v34, v48, v49 :: v_dual_fmac_f32 v8, v1, v8
	v_mul_f32_e32 v10, v9, v8
	s_wait_kmcnt 0x0
	s_and_b32 s8, s3, 0xffff
	s_delay_alu instid0(SALU_CYCLE_1) | instskip(NEXT) | instid1(VALU_DEP_1)
	s_lshl_b32 s18, s8, 3
	v_fma_f32 v1, v6, v10, v9
	s_delay_alu instid0(VALU_DEP_1) | instskip(NEXT) | instid1(VALU_DEP_1)
	v_dual_fmac_f32 v10, v1, v8 :: v_dual_mov_b32 v1, v7
	v_dual_fmac_f32 v9, v6, v10 :: v_dual_lshlrev_b32 v6, 3, v0
	s_delay_alu instid0(VALU_DEP_1) | instskip(NEXT) | instid1(VALU_DEP_2)
	v_div_fmas_f32 v10, v9, v8, v10
	v_add_nc_u64_e32 v[8:9], s[6:7], v[6:7]
	s_delay_alu instid0(VALU_DEP_2)
	v_div_fixup_f32 v6, v10, v50, v48
	v_mov_b64_e32 v[10:11], v[0:1]
	s_branch .LBB4_10
.LBB4_9:                                ;   in Loop: Header=BB4_10 Depth=1
	v_bfe_u32 v1, v29, 16, 1
	s_wait_xcnt 0x0
	v_bfe_u32 v16, v31, 16, 1
	v_bfe_u32 v17, v28, 16, 1
	;; [unrolled: 1-line block ×3, first 2 shown]
	v_cmp_o_f32_e32 vcc_lo, v29, v29
	v_add3_u32 v1, v29, v1, 0x7fff
	v_add3_u32 v16, v31, v16, 0x7fff
	;; [unrolled: 1-line block ×4, first 2 shown]
	v_bfe_u32 v19, v33, 16, 1
	v_bfe_u32 v20, v25, 16, 1
	v_and_b32_e32 v16, 0xffff0000, v16
	v_lshrrev_b32_e32 v1, 16, v1
	v_and_b32_e32 v18, 0xffff0000, v18
	v_lshrrev_b32_e32 v17, 16, v17
	v_add_nc_u64_e32 v[10:11], s[8:9], v[10:11]
	v_add_nc_u64_e32 v[8:9], s[18:19], v[8:9]
	v_cndmask_b32_e32 v1, 0x7fc0, v1, vcc_lo
	v_cmp_o_f32_e32 vcc_lo, v31, v31
	v_cndmask_b32_e32 v16, 0x7fc00000, v16, vcc_lo
	v_cmp_o_f32_e32 vcc_lo, v28, v28
	s_delay_alu instid0(VALU_DEP_2)
	v_or_b32_e32 v1, v16, v1
	v_cndmask_b32_e32 v21, 0x7fc0, v17, vcc_lo
	v_add3_u32 v16, v33, v19, 0x7fff
	v_cmp_o_f32_e32 vcc_lo, v30, v30
	v_bfe_u32 v17, v32, 16, 1
	v_add3_u32 v19, v25, v20, 0x7fff
	v_bfe_u32 v20, v24, 16, 1
	v_lshrrev_b32_e32 v16, 16, v16
	v_cndmask_b32_e32 v18, 0x7fc00000, v18, vcc_lo
	v_cmp_o_f32_e32 vcc_lo, v33, v33
	v_add3_u32 v17, v32, v17, 0x7fff
	v_and_b32_e32 v19, 0xffff0000, v19
	v_add3_u32 v20, v24, v20, 0x7fff
	v_or_b32_e32 v21, v18, v21
	s_delay_alu instid0(VALU_DEP_4)
	v_dual_cndmask_b32 v22, 0x7fc0, v16 :: v_dual_lshrrev_b32 v23, 16, v17
	v_cmp_o_f32_e32 vcc_lo, v25, v25
	v_lshlrev_b64_e32 v[16:17], 2, v[10:11]
	v_and_b32_e32 v20, 0xffff0000, v20
	v_or3_b32 v18, v1, 0, 0
	v_cndmask_b32_e32 v19, 0x7fc00000, v19, vcc_lo
	v_cmp_o_f32_e32 vcc_lo, v32, v32
	s_delay_alu instid0(VALU_DEP_2)
	v_or3_b32 v19, 0, v22, v19
	v_cndmask_b32_e32 v23, 0x7fc0, v23, vcc_lo
	v_cmp_o_f32_e32 vcc_lo, v24, v24
	v_cndmask_b32_e32 v20, 0x7fc00000, v20, vcc_lo
	v_cmp_ge_i64_e32 vcc_lo, v[16:17], v[4:5]
	v_or3_b32 v16, v21, 0, 0
	s_delay_alu instid0(VALU_DEP_3)
	v_or3_b32 v17, 0, v23, v20
	global_store_b64 v[12:13], v[18:19], off
	global_store_b64 v[14:15], v[16:17], off
	s_or_b32 s28, vcc_lo, s28
	s_wait_xcnt 0x0
	s_and_not1_b32 exec_lo, exec_lo, s28
	s_cbranch_execz .LBB4_29
.LBB4_10:                               ; =>This Inner Loop Header: Depth=1
	s_delay_alu instid0(VALU_DEP_3)
	v_add_nc_u64_e32 v[16:17], s[10:11], v[8:9]
	v_add_nc_u64_e32 v[18:19], s[14:15], v[8:9]
	;; [unrolled: 1-line block ×4, first 2 shown]
	s_and_not1_b32 vcc_lo, exec_lo, s25
	global_load_b64 v[20:21], v[16:17], off
	global_load_b64 v[22:23], v[18:19], off
	;; [unrolled: 1-line block ×4, first 2 shown]
	s_wait_loadcnt 0x3
	v_lshlrev_b32_e32 v28, 16, v20
	s_cbranch_vccnz .LBB4_12
; %bb.11:                               ;   in Loop: Header=BB4_10 Depth=1
	global_load_b32 v1, v7, s[12:13]
	s_wait_loadcnt 0x0
	v_div_scale_f32 v29, null, v1, v1, v28
	s_delay_alu instid0(VALU_DEP_1) | instskip(SKIP_1) | instid1(TRANS32_DEP_1)
	v_rcp_f32_e32 v30, v29
	v_nop
	v_fma_f32 v31, -v29, v30, 1.0
	s_delay_alu instid0(VALU_DEP_1) | instskip(SKIP_1) | instid1(VALU_DEP_1)
	v_fmac_f32_e32 v30, v31, v30
	v_div_scale_f32 v31, vcc_lo, v28, v1, v28
	v_mul_f32_e32 v32, v31, v30
	s_delay_alu instid0(VALU_DEP_1) | instskip(NEXT) | instid1(VALU_DEP_1)
	v_fma_f32 v33, -v29, v32, v31
	v_fmac_f32_e32 v32, v33, v30
	s_delay_alu instid0(VALU_DEP_1) | instskip(NEXT) | instid1(VALU_DEP_1)
	v_fma_f32 v29, -v29, v32, v31
	v_div_fmas_f32 v29, v29, v30, v32
	s_delay_alu instid0(VALU_DEP_1)
	v_div_fixup_f32 v28, v29, v1, v28
.LBB4_12:                               ;   in Loop: Header=BB4_10 Depth=1
	s_and_not1_b32 vcc_lo, exec_lo, s25
	s_cbranch_vccnz .LBB4_14
; %bb.13:                               ;   in Loop: Header=BB4_10 Depth=1
	s_delay_alu instid0(VALU_DEP_1) | instskip(SKIP_2) | instid1(VALU_DEP_3)
	v_bfe_u32 v1, v28, 16, 1
	v_cmp_o_f32_e32 vcc_lo, v28, v28
	v_and_b32_e32 v20, 0xffff0000, v20
	v_add3_u32 v1, v28, v1, 0x7fff
	s_delay_alu instid0(VALU_DEP_1) | instskip(NEXT) | instid1(VALU_DEP_1)
	v_lshrrev_b32_e32 v1, 16, v1
	v_cndmask_b32_e32 v1, 0x7fc0, v1, vcc_lo
	s_delay_alu instid0(VALU_DEP_1)
	v_or_b32_e32 v20, v1, v20
.LBB4_14:                               ;   in Loop: Header=BB4_10 Depth=1
	s_delay_alu instid0(VALU_DEP_1)
	v_and_b32_e32 v30, 0xffff0000, v20
	s_and_not1_b32 vcc_lo, exec_lo, s25
	s_cbranch_vccnz .LBB4_16
; %bb.15:                               ;   in Loop: Header=BB4_10 Depth=1
	global_load_b32 v1, v7, s[12:13]
	s_wait_loadcnt 0x0
	v_div_scale_f32 v29, null, v1, v1, v30
	s_delay_alu instid0(VALU_DEP_1) | instskip(SKIP_1) | instid1(TRANS32_DEP_1)
	v_rcp_f32_e32 v31, v29
	v_nop
	v_fma_f32 v32, -v29, v31, 1.0
	s_delay_alu instid0(VALU_DEP_1) | instskip(SKIP_1) | instid1(VALU_DEP_1)
	v_fmac_f32_e32 v31, v32, v31
	v_div_scale_f32 v32, vcc_lo, v30, v1, v30
	v_mul_f32_e32 v33, v32, v31
	s_delay_alu instid0(VALU_DEP_1) | instskip(NEXT) | instid1(VALU_DEP_1)
	v_fma_f32 v35, -v29, v33, v32
	v_fmac_f32_e32 v33, v35, v31
	s_delay_alu instid0(VALU_DEP_1) | instskip(NEXT) | instid1(VALU_DEP_1)
	v_fma_f32 v29, -v29, v33, v32
	v_div_fmas_f32 v29, v29, v31, v33
	s_delay_alu instid0(VALU_DEP_1)
	v_div_fixup_f32 v30, v29, v1, v30
.LBB4_16:                               ;   in Loop: Header=BB4_10 Depth=1
	s_and_not1_b32 vcc_lo, exec_lo, s25
	s_cbranch_vccnz .LBB4_18
; %bb.17:                               ;   in Loop: Header=BB4_10 Depth=1
	s_delay_alu instid0(VALU_DEP_1) | instskip(SKIP_2) | instid1(VALU_DEP_3)
	v_bfe_u32 v1, v30, 16, 1
	v_cmp_o_f32_e32 vcc_lo, v30, v30
	v_and_b32_e32 v20, 0xffff, v20
	v_add3_u32 v1, v30, v1, 0x7fff
	s_delay_alu instid0(VALU_DEP_1) | instskip(NEXT) | instid1(VALU_DEP_1)
	v_and_b32_e32 v1, 0xffff0000, v1
	v_cndmask_b32_e32 v1, 0x7fc00000, v1, vcc_lo
	s_delay_alu instid0(VALU_DEP_1)
	v_or_b32_e32 v20, v1, v20
.LBB4_18:                               ;   in Loop: Header=BB4_10 Depth=1
	s_delay_alu instid0(VALU_DEP_1) | instskip(SKIP_1) | instid1(VALU_DEP_1)
	v_alignbit_b32 v1, v21, v20, 16
	s_and_not1_b32 vcc_lo, exec_lo, s25
	v_and_b32_e32 v32, 0xffff0000, v1
	s_cbranch_vccnz .LBB4_20
; %bb.19:                               ;   in Loop: Header=BB4_10 Depth=1
	global_load_b32 v1, v7, s[12:13]
	s_wait_loadcnt 0x0
	v_div_scale_f32 v29, null, v1, v1, v32
	s_delay_alu instid0(VALU_DEP_1) | instskip(SKIP_1) | instid1(TRANS32_DEP_1)
	v_rcp_f32_e32 v31, v29
	v_nop
	v_fma_f32 v33, -v29, v31, 1.0
	s_delay_alu instid0(VALU_DEP_1) | instskip(SKIP_1) | instid1(VALU_DEP_1)
	v_fmac_f32_e32 v31, v33, v31
	v_div_scale_f32 v33, vcc_lo, v32, v1, v32
	v_mul_f32_e32 v35, v33, v31
	s_delay_alu instid0(VALU_DEP_1) | instskip(NEXT) | instid1(VALU_DEP_1)
	v_fma_f32 v36, -v29, v35, v33
	v_fmac_f32_e32 v35, v36, v31
	s_delay_alu instid0(VALU_DEP_1) | instskip(NEXT) | instid1(VALU_DEP_1)
	v_fma_f32 v29, -v29, v35, v33
	v_div_fmas_f32 v29, v29, v31, v35
	s_delay_alu instid0(VALU_DEP_1)
	v_div_fixup_f32 v32, v29, v1, v32
.LBB4_20:                               ;   in Loop: Header=BB4_10 Depth=1
	s_and_not1_b32 vcc_lo, exec_lo, s25
	s_cbranch_vccnz .LBB4_22
; %bb.21:                               ;   in Loop: Header=BB4_10 Depth=1
	s_delay_alu instid0(VALU_DEP_1) | instskip(SKIP_2) | instid1(VALU_DEP_3)
	v_bfe_u32 v1, v32, 16, 1
	v_cmp_o_f32_e32 vcc_lo, v32, v32
	v_and_b32_e32 v21, 0xffff0000, v21
	v_add3_u32 v1, v32, v1, 0x7fff
	s_delay_alu instid0(VALU_DEP_1) | instskip(NEXT) | instid1(VALU_DEP_1)
	v_lshrrev_b32_e32 v1, 16, v1
	v_cndmask_b32_e32 v1, 0x7fc0, v1, vcc_lo
	s_delay_alu instid0(VALU_DEP_1)
	v_or_b32_e32 v21, v1, v21
.LBB4_22:                               ;   in Loop: Header=BB4_10 Depth=1
	s_delay_alu instid0(VALU_DEP_1)
	v_and_b32_e32 v1, 0xffff0000, v21
	s_and_not1_b32 vcc_lo, exec_lo, s25
	s_cbranch_vccnz .LBB4_24
; %bb.23:                               ;   in Loop: Header=BB4_10 Depth=1
	global_load_b32 v29, v7, s[12:13]
	s_wait_loadcnt 0x0
	v_div_scale_f32 v31, null, v29, v29, v1
	s_delay_alu instid0(VALU_DEP_1) | instskip(SKIP_1) | instid1(TRANS32_DEP_1)
	v_rcp_f32_e32 v33, v31
	v_nop
	v_fma_f32 v35, -v31, v33, 1.0
	s_delay_alu instid0(VALU_DEP_1) | instskip(SKIP_1) | instid1(VALU_DEP_1)
	v_fmac_f32_e32 v33, v35, v33
	v_div_scale_f32 v35, vcc_lo, v1, v29, v1
	v_mul_f32_e32 v36, v35, v33
	s_delay_alu instid0(VALU_DEP_1) | instskip(NEXT) | instid1(VALU_DEP_1)
	v_fma_f32 v37, -v31, v36, v35
	v_fmac_f32_e32 v36, v37, v33
	s_delay_alu instid0(VALU_DEP_1) | instskip(NEXT) | instid1(VALU_DEP_1)
	v_fma_f32 v31, -v31, v36, v35
	v_div_fmas_f32 v31, v31, v33, v36
	s_delay_alu instid0(VALU_DEP_1)
	v_div_fixup_f32 v1, v31, v29, v1
.LBB4_24:                               ;   in Loop: Header=BB4_10 Depth=1
	s_and_not1_b32 vcc_lo, exec_lo, s25
	s_cbranch_vccnz .LBB4_26
; %bb.25:                               ;   in Loop: Header=BB4_10 Depth=1
	s_delay_alu instid0(VALU_DEP_1) | instskip(SKIP_2) | instid1(VALU_DEP_3)
	v_bfe_u32 v29, v1, 16, 1
	v_cmp_o_f32_e32 vcc_lo, v1, v1
	v_and_b32_e32 v21, 0xffff, v21
	v_add3_u32 v29, v1, v29, 0x7fff
	s_delay_alu instid0(VALU_DEP_1) | instskip(NEXT) | instid1(VALU_DEP_1)
	v_and_b32_e32 v29, 0xffff0000, v29
	v_cndmask_b32_e32 v29, 0x7fc00000, v29, vcc_lo
	s_delay_alu instid0(VALU_DEP_1)
	v_or_b32_e32 v21, v29, v21
.LBB4_26:                               ;   in Loop: Header=BB4_10 Depth=1
	s_wait_loadcnt 0x1
	v_dual_cndmask_b32 v29, v28, -v28, s26 :: v_dual_lshlrev_b32 v37, 16, v26
	s_wait_loadcnt 0x0
	s_delay_alu instid0(VALU_DEP_1) | instskip(NEXT) | instid1(VALU_DEP_1)
	v_dual_lshlrev_b32 v36, 16, v24 :: v_dual_mul_f32 v28, v29, v29
	v_pk_fma_f32 v[28:29], v[2:3], v[28:29], v[28:29] neg_lo:[1,0,0] neg_hi:[1,0,0]
	s_delay_alu instid0(VALU_DEP_1) | instskip(NEXT) | instid1(VALU_DEP_1)
	v_pk_fma_f32 v[28:29], v[2:3], v[36:37], v[28:29]
	v_mul_f32_e32 v31, 0x4f800000, v28
	v_cmp_gt_f32_e32 vcc_lo, 0xf800000, v28
	s_delay_alu instid0(VALU_DEP_2) | instskip(NEXT) | instid1(VALU_DEP_1)
	v_cndmask_b32_e32 v33, v28, v31, vcc_lo
	v_sqrt_f32_e32 v31, v33
	v_nop
	s_delay_alu instid0(TRANS32_DEP_1) | instskip(NEXT) | instid1(VALU_DEP_1)
	v_dual_add_nc_u32 v35, -1, v31 :: v_dual_add_nc_u32 v36, 1, v31
	v_dual_fma_f32 v37, -v35, v31, v33 :: v_dual_fma_f32 v38, -v36, v31, v33
	s_delay_alu instid0(VALU_DEP_1) | instskip(SKIP_3) | instid1(VALU_DEP_4)
	v_cmp_ge_f32_e64 s3, 0, v37
	v_and_b32_e32 v37, 0xffff0000, v26
	v_alignbit_b32 v26, v27, v26, 16
	v_and_b32_e32 v27, 0xffff0000, v27
	v_cndmask_b32_e64 v31, v31, v35, s3
	v_cmp_lt_f32_e64 s3, 0, v38
	s_delay_alu instid0(VALU_DEP_1) | instskip(NEXT) | instid1(VALU_DEP_1)
	v_cndmask_b32_e64 v35, v31, v36, s3
	v_mul_f32_e32 v36, 0x37800000, v35
	s_delay_alu instid0(VALU_DEP_1) | instskip(NEXT) | instid1(VALU_DEP_1)
	v_dual_cndmask_b32 v31, v30, -v30, s26 :: v_dual_cndmask_b32 v35, v35, v36, vcc_lo
	v_mul_f32_e32 v30, v31, v31
	v_cmp_class_f32_e64 vcc_lo, v33, 0x260
	v_and_b32_e32 v36, 0xffff0000, v24
	v_alignbit_b32 v24, v25, v24, 16
	s_delay_alu instid0(VALU_DEP_4) | instskip(SKIP_1) | instid1(VALU_DEP_2)
	v_pk_fma_f32 v[30:31], v[2:3], v[30:31], v[30:31] neg_lo:[1,0,0] neg_hi:[1,0,0]
	v_cndmask_b32_e32 v35, v35, v33, vcc_lo
	v_pk_fma_f32 v[30:31], v[2:3], v[36:37], v[30:31]
	s_delay_alu instid0(VALU_DEP_2) | instskip(SKIP_1) | instid1(VALU_DEP_3)
	v_div_scale_f32 v36, null, s27, s27, v35
	v_div_scale_f32 v40, vcc_lo, v35, s27, v35
	v_mul_f32_e32 v33, 0x4f800000, v30
	s_delay_alu instid0(VALU_DEP_3) | instskip(SKIP_1) | instid1(VALU_DEP_1)
	v_rcp_f32_e32 v37, v36
	v_cmp_gt_f32_e64 s3, 0xf800000, v30
	v_cndmask_b32_e64 v38, v30, v33, s3
	s_delay_alu instid0(TRANS32_DEP_1) | instskip(NEXT) | instid1(VALU_DEP_2)
	v_fma_f32 v33, -v36, v37, 1.0
	v_sqrt_f32_e32 v39, v38
	s_delay_alu instid0(VALU_DEP_1)
	v_fmac_f32_e32 v37, v33, v37
	s_delay_alu instid0(TRANS32_DEP_1) | instid1(VALU_DEP_1)
	v_dual_mul_f32 v41, v40, v37 :: v_dual_add_nc_u32 v33, -1, v39
	s_delay_alu instid0(VALU_DEP_1) | instskip(NEXT) | instid1(VALU_DEP_1)
	v_dual_add_nc_u32 v42, 1, v39 :: v_dual_fma_f32 v43, -v36, v41, v40
	v_dual_fma_f32 v44, -v33, v39, v38 :: v_dual_fma_f32 v45, -v42, v39, v38
	s_delay_alu instid0(VALU_DEP_2) | instskip(NEXT) | instid1(VALU_DEP_2)
	v_fmac_f32_e32 v41, v43, v37
	v_cmp_ge_f32_e64 s4, 0, v44
	s_delay_alu instid0(VALU_DEP_1) | instskip(NEXT) | instid1(VALU_DEP_4)
	v_dual_cndmask_b32 v39, v39, v33, s4 :: v_dual_cndmask_b32 v33, v32, -v32, s26
	v_cmp_lt_f32_e64 s4, 0, v45
	s_delay_alu instid0(VALU_DEP_1) | instskip(NEXT) | instid1(VALU_DEP_1)
	v_dual_fma_f32 v32, -v36, v41, v40 :: v_dual_cndmask_b32 v39, v39, v42, s4
	v_div_fmas_f32 v36, v32, v37, v41
	v_and_b32_e32 v37, 0xffff0000, v26
	v_cmp_class_f32_e64 vcc_lo, v38, 0x260
	s_delay_alu instid0(VALU_DEP_4) | instskip(NEXT) | instid1(VALU_DEP_4)
	v_mul_f32_e32 v40, 0x37800000, v39
	v_div_fixup_f32 v26, v36, s27, v35
	v_mul_f32_e32 v35, v6, v29
	v_mul_f32_e32 v32, v33, v33
	v_and_b32_e32 v36, 0xffff0000, v24
	v_cndmask_b32_e64 v24, v39, v40, s3
	v_add_f32_e32 v39, v26, v56
	s_delay_alu instid0(VALU_DEP_4) | instskip(NEXT) | instid1(VALU_DEP_3)
	v_pk_fma_f32 v[32:33], v[2:3], v[32:33], v[32:33] neg_lo:[1,0,0] neg_hi:[1,0,0]
	v_cndmask_b32_e32 v24, v24, v38, vcc_lo
	s_delay_alu instid0(VALU_DEP_3) | instskip(NEXT) | instid1(VALU_DEP_3)
	v_div_scale_f32 v26, null, v39, v39, v35
	v_pk_fma_f32 v[32:33], v[2:3], v[36:37], v[32:33]
	v_div_scale_f32 v44, vcc_lo, v35, v39, v35
	s_delay_alu instid0(VALU_DEP_3) | instskip(SKIP_1) | instid1(VALU_DEP_3)
	v_rcp_f32_e32 v38, v26
	v_div_scale_f32 v36, null, s27, s27, v24
	v_mul_f32_e32 v37, 0x4f800000, v32
	v_cmp_gt_f32_e64 s3, 0xf800000, v32
	v_div_scale_f32 v45, s4, v24, s27, v24
	s_delay_alu instid0(VALU_DEP_4) | instskip(NEXT) | instid1(VALU_DEP_2)
	v_rcp_f32_e32 v40, v36
	v_cndmask_b32_e64 v41, v32, v37, s3
	v_fma_f32 v37, -v26, v38, 1.0
	s_delay_alu instid0(TRANS32_DEP_1) | instskip(NEXT) | instid1(VALU_DEP_2)
	v_fma_f32 v43, -v36, v40, 1.0
	v_fmac_f32_e32 v38, v37, v38
	s_delay_alu instid0(VALU_DEP_4) | instskip(NEXT) | instid1(VALU_DEP_1)
	v_sqrt_f32_e32 v42, v41
	v_dual_fmac_f32 v40, v43, v40 :: v_dual_mul_f32 v43, v44, v38
	s_delay_alu instid0(TRANS32_DEP_1) | instskip(NEXT) | instid1(VALU_DEP_2)
	v_dual_add_nc_u32 v37, -1, v42 :: v_dual_add_nc_u32 v47, 1, v42
	v_dual_mul_f32 v46, v45, v40 :: v_dual_fma_f32 v51, -v26, v43, v44
	s_delay_alu instid0(VALU_DEP_2) | instskip(NEXT) | instid1(VALU_DEP_2)
	v_fma_f32 v52, -v37, v42, v41
	v_fmac_f32_e32 v43, v51, v38
	s_delay_alu instid0(VALU_DEP_2) | instskip(NEXT) | instid1(VALU_DEP_4)
	v_cmp_ge_f32_e64 s5, 0, v52
	v_fma_f32 v53, -v36, v46, v45
	s_delay_alu instid0(VALU_DEP_2) | instskip(NEXT) | instid1(VALU_DEP_2)
	v_dual_fma_f32 v54, -v47, v42, v41 :: v_dual_cndmask_b32 v42, v42, v37, s5
	v_fmac_f32_e32 v46, v53, v40
	v_dual_cndmask_b32 v37, v1, -v1, s26 :: v_dual_fma_f32 v1, -v26, v43, v44
	s_delay_alu instid0(VALU_DEP_3) | instskip(NEXT) | instid1(VALU_DEP_2)
	v_cmp_lt_f32_e64 s5, 0, v54
	v_dual_fma_f32 v26, -v36, v46, v45 :: v_dual_mul_f32 v36, v37, v37
	s_delay_alu instid0(VALU_DEP_3) | instskip(SKIP_2) | instid1(VALU_DEP_3)
	v_div_fmas_f32 v1, v1, v38, v43
	s_mov_b32 vcc_lo, s4
	v_cndmask_b32_e64 v42, v42, v47, s5
	v_div_fmas_f32 v26, v26, v40, v46
	v_cmp_class_f32_e64 vcc_lo, v41, 0x260
	v_div_fixup_f32 v1, v1, v39, v35
	s_delay_alu instid0(VALU_DEP_3) | instskip(SKIP_3) | instid1(VALU_DEP_4)
	v_div_fixup_f32 v40, v26, s27, v24
	v_and_b32_e32 v26, 0xffff0000, v25
	v_pk_fma_f32 v[24:25], v[2:3], v[36:37], v[36:37] neg_lo:[1,0,0] neg_hi:[1,0,0]
	v_mul_f32_e32 v38, 0x37800000, v42
	v_dual_mul_f32 v36, v6, v31 :: v_dual_add_f32 v37, v40, v56
	s_delay_alu instid0(VALU_DEP_3) | instskip(NEXT) | instid1(VALU_DEP_2)
	v_pk_fma_f32 v[24:25], v[2:3], v[26:27], v[24:25]
	v_div_scale_f32 v26, null, v37, v37, v36
	s_delay_alu instid0(VALU_DEP_2) | instskip(SKIP_2) | instid1(VALU_DEP_1)
	v_mul_f32_e32 v40, 0x4f800000, v24
	v_cndmask_b32_e64 v38, v42, v38, s3
	v_cmp_gt_f32_e64 s3, 0xf800000, v24
	v_dual_cndmask_b32 v40, v24, v40, s3 :: v_dual_cndmask_b32 v38, v38, v41, vcc_lo
	v_rcp_f32_e32 v41, v26
	v_div_scale_f32 v46, vcc_lo, v36, v37, v36
	s_delay_alu instid0(VALU_DEP_2) | instskip(NEXT) | instid1(TRANS32_DEP_2)
	v_sqrt_f32_e32 v44, v40
	v_fma_f32 v43, -v26, v41, 1.0
	s_delay_alu instid0(TRANS32_DEP_1) | instskip(NEXT) | instid1(VALU_DEP_2)
	v_dual_add_nc_u32 v47, -1, v44 :: v_dual_add_nc_u32 v52, 1, v44
	v_fmac_f32_e32 v41, v43, v41
	v_div_scale_f32 v27, null, s27, s27, v38
	v_div_scale_f32 v43, s4, v38, s27, v38
	s_delay_alu instid0(VALU_DEP_4) | instskip(NEXT) | instid1(VALU_DEP_3)
	v_fma_f32 v54, -v47, v44, v40
	v_rcp_f32_e32 v42, v27
	v_fma_f32 v57, -v52, v44, v40
	s_delay_alu instid0(VALU_DEP_2) | instskip(SKIP_1) | instid1(TRANS32_DEP_1)
	v_cmp_ge_f32_e64 s5, 0, v54
	v_lshlrev_b32_e32 v54, 16, v22
	v_fma_f32 v45, -v27, v42, 1.0
	s_delay_alu instid0(VALU_DEP_3) | instskip(SKIP_1) | instid1(VALU_DEP_3)
	v_cndmask_b32_e64 v44, v44, v47, s5
	v_cmp_lt_f32_e64 s5, 0, v57
	v_dual_fmac_f32 v42, v45, v42 :: v_dual_mul_f32 v45, v46, v41
	s_delay_alu instid0(VALU_DEP_1) | instskip(NEXT) | instid1(VALU_DEP_1)
	v_dual_mul_f32 v51, v43, v42 :: v_dual_fma_f32 v53, -v26, v45, v46
	v_dual_fma_f32 v55, -v27, v51, v43 :: v_dual_fmac_f32 v45, v53, v41
	s_delay_alu instid0(VALU_DEP_1) | instskip(SKIP_2) | instid1(VALU_DEP_3)
	v_dual_fmac_f32 v51, v55, v42 :: v_dual_fma_f32 v26, -v26, v45, v46
	v_cndmask_b32_e64 v44, v44, v52, s5
	v_fma_mix_f32_bf16 v55, -v34, v22, v22 op_sel_hi:[0,1,1]
	v_fma_f32 v27, -v27, v51, v43
	s_delay_alu instid0(VALU_DEP_4)
	v_div_fmas_f32 v26, v26, v41, v45
	s_mov_b32 vcc_lo, s4
	v_mul_f32_e32 v41, 0x37800000, v44
	v_cndmask_b32_e64 v54, v54, v55, s2
	v_div_fmas_f32 v27, v27, v42, v51
	v_cmp_class_f32_e64 vcc_lo, v40, 0x260
	v_div_fixup_f32 v26, v26, v37, v36
	s_delay_alu instid0(VALU_DEP_4) | instskip(NEXT) | instid1(VALU_DEP_4)
	v_sub_f32_e32 v1, v54, v1
	v_div_fixup_f32 v27, v27, s27, v38
	v_cndmask_b32_e64 v38, v44, v41, s3
	s_delay_alu instid0(VALU_DEP_2) | instskip(NEXT) | instid1(VALU_DEP_2)
	v_dual_mul_f32 v41, v6, v33 :: v_dual_add_f32 v27, v27, v56
	v_cndmask_b32_e32 v38, v38, v40, vcc_lo
	s_delay_alu instid0(VALU_DEP_2) | instskip(NEXT) | instid1(VALU_DEP_2)
	v_div_scale_f32 v40, null, v27, v27, v41
	v_div_scale_f32 v42, null, s27, s27, v38
	s_delay_alu instid0(VALU_DEP_2) | instskip(NEXT) | instid1(VALU_DEP_1)
	v_rcp_f32_e32 v43, v40
	v_rcp_f32_e32 v44, v42
	s_delay_alu instid0(TRANS32_DEP_2) | instskip(NEXT) | instid1(TRANS32_DEP_1)
	v_fma_f32 v45, -v40, v43, 1.0
	v_fma_f32 v46, -v42, v44, 1.0
	s_delay_alu instid0(VALU_DEP_2) | instskip(SKIP_1) | instid1(VALU_DEP_1)
	v_fmac_f32_e32 v43, v45, v43
	v_div_scale_f32 v47, vcc_lo, v41, v27, v41
	v_dual_fmac_f32 v44, v46, v44 :: v_dual_mul_f32 v46, v47, v43
	v_div_scale_f32 v45, s3, v38, s27, v38
	s_delay_alu instid0(VALU_DEP_1) | instskip(NEXT) | instid1(VALU_DEP_1)
	v_dual_fma_f32 v52, -v40, v46, v47 :: v_dual_mul_f32 v51, v45, v44
	v_fmac_f32_e32 v46, v52, v43
	s_delay_alu instid0(VALU_DEP_2) | instskip(SKIP_1) | instid1(VALU_DEP_3)
	v_fma_f32 v53, -v42, v51, v45
	v_and_b32_e32 v52, 0xffff0000, v22
	v_fma_f32 v40, -v40, v46, v47
	s_delay_alu instid0(VALU_DEP_3) | instskip(SKIP_1) | instid1(VALU_DEP_3)
	v_fmac_f32_e32 v51, v53, v44
	v_and_b32_e32 v47, 0xffff0000, v23
	v_div_fmas_f32 v40, v40, v43, v46
	s_delay_alu instid0(VALU_DEP_3) | instskip(SKIP_1) | instid1(VALU_DEP_2)
	v_fma_f32 v42, -v42, v51, v45
	s_mov_b32 vcc_lo, s3
	v_div_fixup_f32 v27, v40, v27, v41
	s_delay_alu instid0(VALU_DEP_2) | instskip(SKIP_3) | instid1(VALU_DEP_4)
	v_div_fmas_f32 v42, v42, v44, v51
	v_alignbit_b32 v51, v23, v22, 16
	v_fma_mix_f32_bf16 v22, -v34, v22, v22 op_sel:[0,1,1] op_sel_hi:[0,1,1]
	v_fma_mix_f32_bf16 v23, -v34, v23, v23 op_sel:[0,1,1] op_sel_hi:[0,1,1]
	v_div_fixup_f32 v38, v42, s27, v38
	s_delay_alu instid0(VALU_DEP_3) | instskip(NEXT) | instid1(VALU_DEP_2)
	v_dual_mul_f32 v42, v6, v25 :: v_dual_cndmask_b32 v22, v52, v22, s2
	v_dual_cndmask_b32 v23, v47, v23, s2 :: v_dual_add_f32 v38, v38, v56
	s_delay_alu instid0(VALU_DEP_1) | instskip(SKIP_1) | instid1(VALU_DEP_2)
	v_div_scale_f32 v43, null, v38, v38, v42
	v_div_scale_f32 v46, vcc_lo, v42, v38, v42
	v_rcp_f32_e32 v44, v43
	v_nop
	s_delay_alu instid0(TRANS32_DEP_1) | instskip(NEXT) | instid1(VALU_DEP_1)
	v_fma_f32 v45, -v43, v44, 1.0
	v_fmac_f32_e32 v44, v45, v44
	s_delay_alu instid0(VALU_DEP_1) | instskip(NEXT) | instid1(VALU_DEP_1)
	v_mul_f32_e32 v45, v46, v44
	v_fma_f32 v53, -v43, v45, v46
	s_delay_alu instid0(VALU_DEP_1) | instskip(SKIP_2) | instid1(VALU_DEP_1)
	v_fmac_f32_e32 v45, v53, v44
	v_and_b32_e32 v53, 0xffff0000, v51
	v_fma_mix_f32_bf16 v51, -v34, v51, v51 op_sel:[0,1,1] op_sel_hi:[0,1,1]
	v_dual_fma_f32 v43, -v43, v45, v46 :: v_dual_cndmask_b32 v36, v53, v51, s2
	v_sub_f32_e32 v22, v22, v26
	v_bfe_u32 v26, v1, 16, 1
	s_delay_alu instid0(VALU_DEP_3) | instskip(SKIP_2) | instid1(VALU_DEP_4)
	v_div_fmas_f32 v35, v43, v44, v45
	v_cmp_o_f32_e32 vcc_lo, v1, v1
	v_sub_f32_e32 v27, v36, v27
	v_add3_u32 v26, v1, v26, 0x7fff
	s_delay_alu instid0(VALU_DEP_4) | instskip(NEXT) | instid1(VALU_DEP_3)
	v_div_fixup_f32 v35, v35, v38, v42
	v_bfe_u32 v36, v27, 16, 1
	s_delay_alu instid0(VALU_DEP_2) | instskip(SKIP_1) | instid1(VALU_DEP_3)
	v_dual_sub_f32 v23, v23, v35 :: v_dual_lshrrev_b32 v26, 16, v26
	v_bfe_u32 v35, v22, 16, 1
	v_add3_u32 v36, v27, v36, 0x7fff
	s_delay_alu instid0(VALU_DEP_3) | instskip(NEXT) | instid1(VALU_DEP_4)
	v_cndmask_b32_e32 v1, 0x7fc0, v26, vcc_lo
	v_bfe_u32 v37, v23, 16, 1
	s_delay_alu instid0(VALU_DEP_4) | instskip(SKIP_2) | instid1(VALU_DEP_4)
	v_add3_u32 v35, v22, v35, 0x7fff
	v_cmp_o_f32_e32 vcc_lo, v22, v22
	v_lshrrev_b32_e32 v26, 16, v36
	v_add3_u32 v37, v23, v37, 0x7fff
	s_delay_alu instid0(VALU_DEP_4) | instskip(NEXT) | instid1(VALU_DEP_2)
	v_and_b32_e32 v35, 0xffff0000, v35
	v_and_b32_e32 v36, 0xffff0000, v37
	s_delay_alu instid0(VALU_DEP_2) | instskip(SKIP_1) | instid1(VALU_DEP_2)
	v_cndmask_b32_e32 v22, 0x7fc00000, v35, vcc_lo
	v_cmp_o_f32_e32 vcc_lo, v27, v27
	v_or_b32_e32 v1, v22, v1
	v_cndmask_b32_e32 v26, 0x7fc0, v26, vcc_lo
	v_cmp_o_f32_e32 vcc_lo, v23, v23
	s_delay_alu instid0(VALU_DEP_3) | instskip(SKIP_2) | instid1(VALU_DEP_1)
	v_or3_b32 v22, v1, 0, 0
	v_cndmask_b32_e32 v23, 0x7fc00000, v36, vcc_lo
	s_and_not1_b32 vcc_lo, exec_lo, s25
	v_or3_b32 v23, 0, v26, v23
	global_store_b64 v[18:19], v[22:23], off
	s_cbranch_vccnz .LBB4_9
; %bb.27:                               ;   in Loop: Header=BB4_10 Depth=1
	global_store_b64 v[16:17], v[20:21], off
	s_branch .LBB4_9
.LBB4_28:
                                        ; implicit-def: $sgpr4
	v_mov_b32_e32 v48, s4
	s_branch .LBB4_2
.LBB4_29:
	s_or_b32 exec_lo, exec_lo, s24
	s_mov_b32 s2, 0
.LBB4_30:
	s_delay_alu instid0(SALU_CYCLE_1)
	s_and_not1_b32 vcc_lo, exec_lo, s2
	s_cbranch_vccnz .LBB4_100
; %bb.31:
	v_cmp_lt_i64_e64 s2, s[16:17], 1
	s_and_b32 vcc_lo, exec_lo, s2
	s_cbranch_vccnz .LBB4_100
; %bb.32:
	v_div_scale_f32 v1, null, v50, v50, v48
	s_load_b32 s1, s[0:1], 0xd64
	v_dual_mov_b32 v6, 0 :: v_dual_lshlrev_b32 v24, 1, v0
	v_rcp_f32_e32 v7, v1
	v_xor_b32_e32 v28, 0x80000000, v1
	v_div_scale_f32 v29, vcc_lo, v48, v50, v48
	v_min_i64 v[4:5], 0x10000, s[16:17]
	v_min_u64 v[8:9], 0x10000, s[16:17]
	s_mov_b32 s9, 0
	s_delay_alu instid0(TRANS32_DEP_1) | instskip(SKIP_3) | instid1(VALU_DEP_3)
	v_fma_f32 v1, v28, v7, 1.0
	v_mov_b32_e32 v25, v6
	s_mov_b32 s3, s9
	v_dual_mov_b32 v47, v6 :: v_dual_mul_f32 v57, v48, v49
	v_dual_fmac_f32 v7, v1, v7 :: v_dual_mov_b32 v1, v6
	s_delay_alu instid0(VALU_DEP_3) | instskip(SKIP_2) | instid1(VALU_DEP_4)
	v_add_nc_u64_e32 v[10:11], s[14:15], v[24:25]
	v_add_nc_u64_e32 v[12:13], s[10:11], v[24:25]
	;; [unrolled: 1-line block ×3, first 2 shown]
	v_mul_f32_e32 v30, v29, v7
	s_wait_kmcnt 0x0
	s_and_b32 s2, s1, 0xffff
	v_add_nc_u64_e32 v[16:17], s[22:23], v[24:25]
	s_lshl_b32 s4, s2, 1
	s_cmp_lg_u64 s[12:13], 0
	v_fma_f32 v18, v28, v30, v29
	s_cselect_b32 s16, -1, 0
	s_lshl_b32 s8, s2, 2
	v_mad_nc_u64_u32 v[26:27], s2, 6, v[24:25]
	v_add_nc_u64_e32 v[36:37], s[8:9], v[24:25]
	v_add_nc_u64_e32 v[24:25], s[2:3], v[0:1]
	v_fmac_f32_e32 v30, v18, v7
	s_mov_b32 s5, s9
	s_mov_b32 s19, s9
	s_mul_i32 s18, s2, 3
	v_add_nc_u64_e32 v[38:39], s[4:5], v[0:1]
	v_add_nc_u64_e32 v[32:33], s[10:11], v[36:37]
	v_dual_fmac_f32 v29, v28, v30 :: v_dual_lshlrev_b32 v46, 1, v24
	v_add_nc_u64_e32 v[18:19], s[14:15], v[26:27]
	v_add_nc_u64_e32 v[20:21], s[10:11], v[26:27]
	;; [unrolled: 1-line block ×4, first 2 shown]
	v_div_fmas_f32 v7, v29, v7, v30
	v_add_nc_u64_e32 v[28:29], s[18:19], v[0:1]
	v_add_nc_u64_e32 v[30:31], s[14:15], v[36:37]
	;; [unrolled: 1-line block ×8, first 2 shown]
	v_cmp_neq_f32_e64 s0, 0, v49
	v_div_fixup_f32 v58, v7, v50, v48
	s_mov_b64 s[10:11], 0
	s_lshl_b32 s14, s2, 3
	s_mov_b32 s15, s9
	s_branch .LBB4_34
.LBB4_33:                               ;   in Loop: Header=BB4_34 Depth=1
	s_wait_xcnt 0x0
	s_or_b32 exec_lo, exec_lo, s1
	s_add_nc_u64 s[10:11], s[10:11], s[8:9]
	v_add_nc_u64_e32 v[10:11], s[14:15], v[10:11]
	v_cmp_ge_i64_e32 vcc_lo, s[10:11], v[4:5]
	v_add_nc_u64_e32 v[12:13], s[14:15], v[12:13]
	v_add_nc_u64_e32 v[14:15], s[14:15], v[14:15]
	;; [unrolled: 1-line block ×15, first 2 shown]
	s_cbranch_vccnz .LBB4_100
.LBB4_34:                               ; =>This Inner Loop Header: Depth=1
	v_add_nc_u64_e32 v[50:51], s[10:11], v[0:1]
	v_mov_b64_e32 v[52:53], 0
	v_mov_b64_e32 v[48:49], 0
	s_delay_alu instid0(VALU_DEP_3)
	v_cmp_lt_u64_e64 s1, v[50:51], v[8:9]
	v_mov_b64_e32 v[50:51], 0
	s_and_saveexec_b32 s2, s1
	s_cbranch_execz .LBB4_36
; %bb.35:                               ;   in Loop: Header=BB4_34 Depth=1
	v_add_nc_u64_e32 v[48:49], s[6:7], v[10:11]
	v_add_nc_u64_e32 v[50:51], s[6:7], v[12:13]
	global_load_u16 v7, v[48:49], off
	global_load_u16 v54, v[50:51], off
	s_wait_xcnt 0x0
	v_dual_mov_b32 v51, s9 :: v_dual_mov_b32 v49, s9
	s_wait_loadcnt 0x1
	v_and_b32_e32 v50, 0xffff, v7
	s_wait_loadcnt 0x0
	v_and_b32_e32 v48, 0xffff, v54
.LBB4_36:                               ;   in Loop: Header=BB4_34 Depth=1
	s_or_b32 exec_lo, exec_lo, s2
	v_mov_b64_e32 v[54:55], 0
	s_and_saveexec_b32 s2, s1
	s_cbranch_execz .LBB4_38
; %bb.37:                               ;   in Loop: Header=BB4_34 Depth=1
	v_add_nc_u64_e32 v[52:53], s[6:7], v[14:15]
	v_add_nc_u64_e32 v[54:55], s[6:7], v[16:17]
	global_load_u16 v7, v[52:53], off
	global_load_u16 v59, v[54:55], off
	s_wait_xcnt 0x0
	v_dual_mov_b32 v55, s9 :: v_dual_mov_b32 v53, s9
	s_wait_loadcnt 0x1
	v_and_b32_e32 v54, 0xffff, v7
	s_wait_loadcnt 0x0
	v_and_b32_e32 v52, 0xffff, v59
.LBB4_38:                               ;   in Loop: Header=BB4_34 Depth=1
	s_or_b32 exec_lo, exec_lo, s2
	v_add_nc_u64_e32 v[60:61], s[10:11], v[24:25]
	s_delay_alu instid0(VALU_DEP_1)
	v_cmp_lt_u64_e64 s2, v[60:61], v[8:9]
	s_and_saveexec_b32 s3, s2
	s_cbranch_execz .LBB4_40
; %bb.39:                               ;   in Loop: Header=BB4_34 Depth=1
	v_add_nc_u64_e32 v[60:61], s[6:7], v[40:41]
	v_add_nc_u64_e32 v[62:63], s[6:7], v[42:43]
	global_load_u16 v7, v[60:61], off
	global_load_u16 v59, v[62:63], off
	s_wait_loadcnt 0x1
	v_lshl_or_b32 v50, v7, 16, v50
	s_wait_loadcnt 0x0
	v_lshl_or_b32 v48, v59, 16, v48
.LBB4_40:                               ;   in Loop: Header=BB4_34 Depth=1
	s_wait_xcnt 0x0
	s_or_b32 exec_lo, exec_lo, s3
	s_and_saveexec_b32 s3, s2
	s_cbranch_execz .LBB4_42
; %bb.41:                               ;   in Loop: Header=BB4_34 Depth=1
	v_add_nc_u64_e32 v[60:61], s[6:7], v[44:45]
	v_add_nc_u64_e32 v[62:63], s[6:7], v[46:47]
	global_load_u16 v7, v[60:61], off
	global_load_u16 v59, v[62:63], off
	s_wait_loadcnt 0x1
	v_lshl_or_b32 v54, v7, 16, v54
	s_wait_loadcnt 0x0
	v_lshl_or_b32 v52, v59, 16, v52
.LBB4_42:                               ;   in Loop: Header=BB4_34 Depth=1
	s_wait_xcnt 0x0
	s_or_b32 exec_lo, exec_lo, s3
	v_add_nc_u64_e32 v[60:61], s[10:11], v[38:39]
	s_delay_alu instid0(VALU_DEP_1) | instskip(SKIP_2) | instid1(SALU_CYCLE_1)
	v_cmp_lt_u64_e64 s3, v[60:61], v[8:9]
	v_cmp_ge_u64_e32 vcc_lo, v[60:61], v[8:9]
	s_and_saveexec_b32 s4, vcc_lo
	s_xor_b32 s4, exec_lo, s4
	s_delay_alu instid0(SALU_CYCLE_1)
	s_and_not1_saveexec_b32 s4, s4
	s_cbranch_execz .LBB4_44
; %bb.43:                               ;   in Loop: Header=BB4_34 Depth=1
	v_add_nc_u64_e32 v[60:61], s[6:7], v[30:31]
	v_add_nc_u64_e32 v[62:63], s[6:7], v[32:33]
	global_load_u16 v7, v[60:61], off
	global_load_u16 v59, v[62:63], off
	s_wait_loadcnt 0x1
	v_or_b32_e32 v51, v7, v51
	s_wait_loadcnt 0x0
	v_or_b32_e32 v49, v59, v49
.LBB4_44:                               ;   in Loop: Header=BB4_34 Depth=1
	s_wait_xcnt 0x0
	s_or_b32 exec_lo, exec_lo, s4
	s_and_saveexec_b32 s4, vcc_lo
	s_delay_alu instid0(SALU_CYCLE_1) | instskip(NEXT) | instid1(SALU_CYCLE_1)
	s_xor_b32 s4, exec_lo, s4
	s_and_not1_saveexec_b32 s4, s4
	s_cbranch_execz .LBB4_46
; %bb.45:                               ;   in Loop: Header=BB4_34 Depth=1
	v_add_nc_u64_e32 v[60:61], s[6:7], v[34:35]
	v_add_nc_u64_e32 v[62:63], s[6:7], v[36:37]
	global_load_u16 v7, v[60:61], off
	global_load_u16 v59, v[62:63], off
	s_wait_loadcnt 0x1
	v_or_b32_e32 v55, v7, v55
	s_wait_loadcnt 0x0
	v_or_b32_e32 v53, v59, v53
.LBB4_46:                               ;   in Loop: Header=BB4_34 Depth=1
	s_wait_xcnt 0x0
	s_or_b32 exec_lo, exec_lo, s4
	v_add_nc_u64_e32 v[60:61], s[10:11], v[28:29]
	s_delay_alu instid0(VALU_DEP_1)
	v_cmp_lt_u64_e64 s4, v[60:61], v[8:9]
	s_and_saveexec_b32 s5, s4
	s_cbranch_execnz .LBB4_87
; %bb.47:                               ;   in Loop: Header=BB4_34 Depth=1
	s_or_b32 exec_lo, exec_lo, s5
	s_and_saveexec_b32 s5, s4
	s_cbranch_execnz .LBB4_88
.LBB4_48:                               ;   in Loop: Header=BB4_34 Depth=1
	s_or_b32 exec_lo, exec_lo, s5
	v_lshlrev_b32_e32 v7, 16, v48
	s_and_not1_b32 vcc_lo, exec_lo, s16
	s_cbranch_vccnz .LBB4_50
.LBB4_49:                               ;   in Loop: Header=BB4_34 Depth=1
	global_load_b32 v59, v6, s[12:13]
	s_wait_loadcnt 0x0
	v_div_scale_f32 v60, null, v59, v59, v7
	s_delay_alu instid0(VALU_DEP_1) | instskip(SKIP_1) | instid1(TRANS32_DEP_1)
	v_rcp_f32_e32 v61, v60
	v_nop
	v_fma_f32 v62, -v60, v61, 1.0
	s_delay_alu instid0(VALU_DEP_1) | instskip(SKIP_1) | instid1(VALU_DEP_1)
	v_fmac_f32_e32 v61, v62, v61
	v_div_scale_f32 v62, vcc_lo, v7, v59, v7
	v_mul_f32_e32 v63, v62, v61
	s_delay_alu instid0(VALU_DEP_1) | instskip(NEXT) | instid1(VALU_DEP_1)
	v_fma_f32 v64, -v60, v63, v62
	v_fmac_f32_e32 v63, v64, v61
	s_delay_alu instid0(VALU_DEP_1) | instskip(NEXT) | instid1(VALU_DEP_1)
	v_fma_f32 v60, -v60, v63, v62
	v_div_fmas_f32 v60, v60, v61, v63
	s_delay_alu instid0(VALU_DEP_1)
	v_div_fixup_f32 v7, v60, v59, v7
.LBB4_50:                               ;   in Loop: Header=BB4_34 Depth=1
	s_and_not1_b32 vcc_lo, exec_lo, s16
	s_cbranch_vccnz .LBB4_52
; %bb.51:                               ;   in Loop: Header=BB4_34 Depth=1
	s_delay_alu instid0(VALU_DEP_1) | instskip(SKIP_2) | instid1(VALU_DEP_3)
	v_bfe_u32 v59, v7, 16, 1
	v_cmp_o_f32_e32 vcc_lo, v7, v7
	v_and_b32_e32 v48, 0xffff0000, v48
	v_add3_u32 v59, v7, v59, 0x7fff
	s_delay_alu instid0(VALU_DEP_1) | instskip(NEXT) | instid1(VALU_DEP_1)
	v_lshrrev_b32_e32 v59, 16, v59
	v_cndmask_b32_e32 v59, 0x7fc0, v59, vcc_lo
	s_delay_alu instid0(VALU_DEP_1)
	v_or_b32_e32 v48, v59, v48
.LBB4_52:                               ;   in Loop: Header=BB4_34 Depth=1
	s_delay_alu instid0(VALU_DEP_1)
	v_and_b32_e32 v60, 0xffff0000, v48
	s_and_not1_b32 vcc_lo, exec_lo, s16
	s_cbranch_vccnz .LBB4_54
; %bb.53:                               ;   in Loop: Header=BB4_34 Depth=1
	global_load_b32 v59, v6, s[12:13]
	s_wait_loadcnt 0x0
	v_div_scale_f32 v61, null, v59, v59, v60
	s_delay_alu instid0(VALU_DEP_1) | instskip(SKIP_1) | instid1(TRANS32_DEP_1)
	v_rcp_f32_e32 v62, v61
	v_nop
	v_fma_f32 v63, -v61, v62, 1.0
	s_delay_alu instid0(VALU_DEP_1) | instskip(SKIP_1) | instid1(VALU_DEP_1)
	v_fmac_f32_e32 v62, v63, v62
	v_div_scale_f32 v63, vcc_lo, v60, v59, v60
	v_mul_f32_e32 v64, v63, v62
	s_delay_alu instid0(VALU_DEP_1) | instskip(NEXT) | instid1(VALU_DEP_1)
	v_fma_f32 v65, -v61, v64, v63
	v_fmac_f32_e32 v64, v65, v62
	s_delay_alu instid0(VALU_DEP_1) | instskip(NEXT) | instid1(VALU_DEP_1)
	v_fma_f32 v61, -v61, v64, v63
	v_div_fmas_f32 v61, v61, v62, v64
	s_delay_alu instid0(VALU_DEP_1)
	v_div_fixup_f32 v60, v61, v59, v60
.LBB4_54:                               ;   in Loop: Header=BB4_34 Depth=1
	s_and_not1_b32 vcc_lo, exec_lo, s16
	s_cbranch_vccnz .LBB4_56
; %bb.55:                               ;   in Loop: Header=BB4_34 Depth=1
	s_delay_alu instid0(VALU_DEP_1) | instskip(SKIP_2) | instid1(VALU_DEP_3)
	v_bfe_u32 v59, v60, 16, 1
	v_cmp_o_f32_e32 vcc_lo, v60, v60
	v_and_b32_e32 v48, 0xffff, v48
	v_add3_u32 v59, v60, v59, 0x7fff
	s_delay_alu instid0(VALU_DEP_1) | instskip(NEXT) | instid1(VALU_DEP_1)
	v_and_b32_e32 v59, 0xffff0000, v59
	v_cndmask_b32_e32 v59, 0x7fc00000, v59, vcc_lo
	s_delay_alu instid0(VALU_DEP_1)
	v_or_b32_e32 v48, v59, v48
.LBB4_56:                               ;   in Loop: Header=BB4_34 Depth=1
	s_delay_alu instid0(VALU_DEP_1) | instskip(SKIP_1) | instid1(VALU_DEP_1)
	v_alignbit_b32 v59, v49, v48, 16
	s_and_not1_b32 vcc_lo, exec_lo, s16
	v_and_b32_e32 v63, 0xffff0000, v59
	s_cbranch_vccnz .LBB4_58
; %bb.57:                               ;   in Loop: Header=BB4_34 Depth=1
	global_load_b32 v59, v6, s[12:13]
	s_wait_loadcnt 0x0
	v_div_scale_f32 v61, null, v59, v59, v63
	s_delay_alu instid0(VALU_DEP_1) | instskip(SKIP_1) | instid1(TRANS32_DEP_1)
	v_rcp_f32_e32 v62, v61
	v_nop
	v_fma_f32 v64, -v61, v62, 1.0
	s_delay_alu instid0(VALU_DEP_1) | instskip(SKIP_1) | instid1(VALU_DEP_1)
	v_fmac_f32_e32 v62, v64, v62
	v_div_scale_f32 v64, vcc_lo, v63, v59, v63
	v_mul_f32_e32 v65, v64, v62
	s_delay_alu instid0(VALU_DEP_1) | instskip(NEXT) | instid1(VALU_DEP_1)
	v_fma_f32 v66, -v61, v65, v64
	v_fmac_f32_e32 v65, v66, v62
	s_delay_alu instid0(VALU_DEP_1) | instskip(NEXT) | instid1(VALU_DEP_1)
	v_fma_f32 v61, -v61, v65, v64
	v_div_fmas_f32 v61, v61, v62, v65
	s_delay_alu instid0(VALU_DEP_1)
	v_div_fixup_f32 v63, v61, v59, v63
.LBB4_58:                               ;   in Loop: Header=BB4_34 Depth=1
	s_and_not1_b32 vcc_lo, exec_lo, s16
	s_cbranch_vccnz .LBB4_60
; %bb.59:                               ;   in Loop: Header=BB4_34 Depth=1
	s_delay_alu instid0(VALU_DEP_1) | instskip(SKIP_2) | instid1(VALU_DEP_3)
	v_bfe_u32 v59, v63, 16, 1
	v_cmp_o_f32_e32 vcc_lo, v63, v63
	v_and_b32_e32 v49, 0xffff0000, v49
	v_add3_u32 v59, v63, v59, 0x7fff
	s_delay_alu instid0(VALU_DEP_1) | instskip(NEXT) | instid1(VALU_DEP_1)
	v_lshrrev_b32_e32 v59, 16, v59
	v_cndmask_b32_e32 v59, 0x7fc0, v59, vcc_lo
	s_delay_alu instid0(VALU_DEP_1)
	v_or_b32_e32 v49, v59, v49
.LBB4_60:                               ;   in Loop: Header=BB4_34 Depth=1
	s_delay_alu instid0(VALU_DEP_1)
	v_and_b32_e32 v62, 0xffff0000, v49
	s_and_not1_b32 vcc_lo, exec_lo, s16
	s_cbranch_vccnz .LBB4_62
; %bb.61:                               ;   in Loop: Header=BB4_34 Depth=1
	global_load_b32 v59, v6, s[12:13]
	s_wait_loadcnt 0x0
	v_div_scale_f32 v61, null, v59, v59, v62
	s_delay_alu instid0(VALU_DEP_1) | instskip(SKIP_1) | instid1(TRANS32_DEP_1)
	v_rcp_f32_e32 v64, v61
	v_nop
	v_fma_f32 v65, -v61, v64, 1.0
	s_delay_alu instid0(VALU_DEP_1) | instskip(SKIP_1) | instid1(VALU_DEP_1)
	v_fmac_f32_e32 v64, v65, v64
	v_div_scale_f32 v65, vcc_lo, v62, v59, v62
	v_mul_f32_e32 v66, v65, v64
	s_delay_alu instid0(VALU_DEP_1) | instskip(NEXT) | instid1(VALU_DEP_1)
	v_fma_f32 v67, -v61, v66, v65
	v_fmac_f32_e32 v66, v67, v64
	s_delay_alu instid0(VALU_DEP_1) | instskip(NEXT) | instid1(VALU_DEP_1)
	v_fma_f32 v61, -v61, v66, v65
	v_div_fmas_f32 v61, v61, v64, v66
	s_delay_alu instid0(VALU_DEP_1)
	v_div_fixup_f32 v62, v61, v59, v62
.LBB4_62:                               ;   in Loop: Header=BB4_34 Depth=1
	s_and_not1_b32 vcc_lo, exec_lo, s16
	s_cbranch_vccnz .LBB4_64
; %bb.63:                               ;   in Loop: Header=BB4_34 Depth=1
	s_delay_alu instid0(VALU_DEP_1) | instskip(SKIP_2) | instid1(VALU_DEP_3)
	v_bfe_u32 v59, v62, 16, 1
	v_cmp_o_f32_e32 vcc_lo, v62, v62
	v_and_b32_e32 v49, 0xffff, v49
	v_add3_u32 v59, v62, v59, 0x7fff
	s_delay_alu instid0(VALU_DEP_1) | instskip(NEXT) | instid1(VALU_DEP_1)
	v_and_b32_e32 v59, 0xffff0000, v59
	v_cndmask_b32_e32 v59, 0x7fc00000, v59, vcc_lo
	s_delay_alu instid0(VALU_DEP_1)
	v_or_b32_e32 v49, v59, v49
.LBB4_64:                               ;   in Loop: Header=BB4_34 Depth=1
	v_cndmask_b32_e64 v7, v7, -v7, s26
	s_delay_alu instid0(VALU_DEP_1) | instskip(SKIP_1) | instid1(VALU_DEP_2)
	v_mul_f32_e32 v59, v7, v7
	v_fma_f32 v7, -v3, v7, v7
	v_fma_f32 v61, -v2, v59, v59
	s_delay_alu instid0(VALU_DEP_2) | instskip(NEXT) | instid1(VALU_DEP_2)
	v_fma_mix_f32_bf16 v59, v3, v54, v7 op_sel_hi:[0,1,0]
	v_fma_mix_f32_bf16 v7, v2, v52, v61 op_sel_hi:[0,1,0]
	s_wait_xcnt 0x0
	s_and_saveexec_b32 s17, s1
	s_cbranch_execz .LBB4_66
; %bb.65:                               ;   in Loop: Header=BB4_34 Depth=1
	s_delay_alu instid0(VALU_DEP_1) | instskip(SKIP_1) | instid1(VALU_DEP_2)
	v_mul_f32_e32 v61, 0x4f800000, v7
	v_cmp_gt_f32_e32 vcc_lo, 0xf800000, v7
	v_cndmask_b32_e32 v61, v7, v61, vcc_lo
	s_delay_alu instid0(VALU_DEP_1) | instskip(SKIP_1) | instid1(TRANS32_DEP_1)
	v_sqrt_f32_e32 v64, v61
	v_nop
	v_dual_add_nc_u32 v65, -1, v64 :: v_dual_add_nc_u32 v66, 1, v64
	s_delay_alu instid0(VALU_DEP_1) | instskip(NEXT) | instid1(VALU_DEP_1)
	v_dual_fma_f32 v67, -v65, v64, v61 :: v_dual_fma_f32 v68, -v66, v64, v61
	v_cmp_ge_f32_e64 s5, 0, v67
	s_delay_alu instid0(VALU_DEP_1) | instskip(NEXT) | instid1(VALU_DEP_3)
	v_cndmask_b32_e64 v64, v64, v65, s5
	v_cmp_lt_f32_e64 s5, 0, v68
	s_delay_alu instid0(VALU_DEP_1) | instskip(NEXT) | instid1(VALU_DEP_1)
	v_cndmask_b32_e64 v64, v64, v66, s5
	v_mul_f32_e32 v65, 0x37800000, v64
	s_delay_alu instid0(VALU_DEP_1) | instskip(SKIP_1) | instid1(VALU_DEP_2)
	v_cndmask_b32_e32 v64, v64, v65, vcc_lo
	v_cmp_class_f32_e64 vcc_lo, v61, 0x260
	v_cndmask_b32_e32 v61, v64, v61, vcc_lo
	s_delay_alu instid0(VALU_DEP_1) | instskip(SKIP_1) | instid1(VALU_DEP_2)
	v_div_scale_f32 v64, null, s27, s27, v61
	v_div_scale_f32 v67, vcc_lo, v61, s27, v61
	v_rcp_f32_e32 v65, v64
	v_nop
	s_delay_alu instid0(TRANS32_DEP_1) | instskip(NEXT) | instid1(VALU_DEP_1)
	v_fma_f32 v66, -v64, v65, 1.0
	v_fmac_f32_e32 v65, v66, v65
	s_delay_alu instid0(VALU_DEP_1) | instskip(NEXT) | instid1(VALU_DEP_1)
	v_mul_f32_e32 v66, v67, v65
	v_fma_f32 v68, -v64, v66, v67
	s_delay_alu instid0(VALU_DEP_1) | instskip(NEXT) | instid1(VALU_DEP_1)
	v_fmac_f32_e32 v66, v68, v65
	v_fma_f32 v64, -v64, v66, v67
	s_delay_alu instid0(VALU_DEP_1) | instskip(NEXT) | instid1(VALU_DEP_1)
	v_div_fmas_f32 v64, v64, v65, v66
	v_div_fixup_f32 v61, v64, s27, v61
	s_delay_alu instid0(VALU_DEP_1) | instskip(NEXT) | instid1(VALU_DEP_1)
	v_dual_mul_f32 v64, v58, v59 :: v_dual_add_f32 v61, v61, v56
	v_div_scale_f32 v65, null, v61, v61, v64
	s_delay_alu instid0(VALU_DEP_1) | instskip(SKIP_1) | instid1(TRANS32_DEP_1)
	v_rcp_f32_e32 v66, v65
	v_nop
	v_fma_f32 v67, -v65, v66, 1.0
	s_delay_alu instid0(VALU_DEP_1) | instskip(SKIP_1) | instid1(VALU_DEP_1)
	v_fmac_f32_e32 v66, v67, v66
	v_div_scale_f32 v67, vcc_lo, v64, v61, v64
	v_mul_f32_e32 v68, v67, v66
	s_delay_alu instid0(VALU_DEP_1) | instskip(NEXT) | instid1(VALU_DEP_1)
	v_fma_f32 v69, -v65, v68, v67
	v_fmac_f32_e32 v68, v69, v66
	v_fma_mix_f32_bf16 v69, -v57, v50, v50 op_sel_hi:[0,1,1]
	s_delay_alu instid0(VALU_DEP_2) | instskip(NEXT) | instid1(VALU_DEP_1)
	v_dual_fma_f32 v65, -v65, v68, v67 :: v_dual_lshlrev_b32 v67, 16, v50
	v_div_fmas_f32 v65, v65, v66, v68
	s_delay_alu instid0(VALU_DEP_2) | instskip(NEXT) | instid1(VALU_DEP_2)
	v_cndmask_b32_e64 v66, v67, v69, s0
	v_div_fixup_f32 v61, v65, v61, v64
	s_delay_alu instid0(VALU_DEP_1) | instskip(NEXT) | instid1(VALU_DEP_1)
	v_sub_f32_e32 v61, v66, v61
	v_bfe_u32 v64, v61, 16, 1
	v_cmp_o_f32_e32 vcc_lo, v61, v61
	s_delay_alu instid0(VALU_DEP_2) | instskip(NEXT) | instid1(VALU_DEP_1)
	v_add3_u32 v64, v61, v64, 0x7fff
	v_lshrrev_b32_e32 v66, 16, v64
	v_add_nc_u64_e32 v[64:65], s[6:7], v[10:11]
	s_delay_alu instid0(VALU_DEP_2)
	v_cndmask_b32_e32 v61, 0x7fc0, v66, vcc_lo
	global_store_b16 v[64:65], v61, off
.LBB4_66:                               ;   in Loop: Header=BB4_34 Depth=1
	s_wait_xcnt 0x0
	s_or_b32 exec_lo, exec_lo, s17
	v_cndmask_b32_e64 v60, v60, -v60, s26
	s_delay_alu instid0(VALU_DEP_1) | instskip(NEXT) | instid1(VALU_DEP_1)
	v_mul_f32_e32 v61, v60, v60
	v_dual_fma_f32 v64, -v2, v61, v61 :: v_dual_fma_f32 v60, -v3, v60, v60
	s_delay_alu instid0(VALU_DEP_1) | instskip(NEXT) | instid1(VALU_DEP_2)
	v_fma_mix_f32_bf16 v61, v3, v54, v60 op_sel:[0,1,0] op_sel_hi:[0,1,0]
	v_fma_mix_f32_bf16 v60, v2, v52, v64 op_sel:[0,1,0] op_sel_hi:[0,1,0]
	s_and_saveexec_b32 s17, s2
	s_cbranch_execz .LBB4_68
; %bb.67:                               ;   in Loop: Header=BB4_34 Depth=1
	s_delay_alu instid0(VALU_DEP_1) | instskip(SKIP_1) | instid1(VALU_DEP_2)
	v_mul_f32_e32 v64, 0x4f800000, v60
	v_cmp_gt_f32_e32 vcc_lo, 0xf800000, v60
	v_cndmask_b32_e32 v64, v60, v64, vcc_lo
	s_delay_alu instid0(VALU_DEP_1) | instskip(SKIP_1) | instid1(TRANS32_DEP_1)
	v_sqrt_f32_e32 v65, v64
	v_nop
	v_dual_add_nc_u32 v66, -1, v65 :: v_dual_add_nc_u32 v67, 1, v65
	s_delay_alu instid0(VALU_DEP_1) | instskip(NEXT) | instid1(VALU_DEP_1)
	v_dual_fma_f32 v68, -v66, v65, v64 :: v_dual_fma_f32 v69, -v67, v65, v64
	v_cmp_ge_f32_e64 s5, 0, v68
	s_delay_alu instid0(VALU_DEP_1) | instskip(NEXT) | instid1(VALU_DEP_3)
	v_cndmask_b32_e64 v65, v65, v66, s5
	v_cmp_lt_f32_e64 s5, 0, v69
	s_delay_alu instid0(VALU_DEP_1) | instskip(NEXT) | instid1(VALU_DEP_1)
	v_cndmask_b32_e64 v65, v65, v67, s5
	v_mul_f32_e32 v66, 0x37800000, v65
	s_delay_alu instid0(VALU_DEP_1) | instskip(SKIP_1) | instid1(VALU_DEP_2)
	v_cndmask_b32_e32 v65, v65, v66, vcc_lo
	v_cmp_class_f32_e64 vcc_lo, v64, 0x260
	v_cndmask_b32_e32 v64, v65, v64, vcc_lo
	s_delay_alu instid0(VALU_DEP_1) | instskip(SKIP_1) | instid1(VALU_DEP_2)
	v_div_scale_f32 v65, null, s27, s27, v64
	v_div_scale_f32 v68, vcc_lo, v64, s27, v64
	v_rcp_f32_e32 v66, v65
	v_nop
	s_delay_alu instid0(TRANS32_DEP_1) | instskip(NEXT) | instid1(VALU_DEP_1)
	v_fma_f32 v67, -v65, v66, 1.0
	v_fmac_f32_e32 v66, v67, v66
	s_delay_alu instid0(VALU_DEP_1) | instskip(NEXT) | instid1(VALU_DEP_1)
	v_mul_f32_e32 v67, v68, v66
	v_fma_f32 v69, -v65, v67, v68
	s_delay_alu instid0(VALU_DEP_1) | instskip(NEXT) | instid1(VALU_DEP_1)
	v_fmac_f32_e32 v67, v69, v66
	v_fma_f32 v65, -v65, v67, v68
	s_delay_alu instid0(VALU_DEP_1) | instskip(NEXT) | instid1(VALU_DEP_1)
	v_div_fmas_f32 v65, v65, v66, v67
	v_div_fixup_f32 v64, v65, s27, v64
	s_delay_alu instid0(VALU_DEP_1) | instskip(NEXT) | instid1(VALU_DEP_1)
	v_dual_mul_f32 v65, v58, v61 :: v_dual_add_f32 v64, v64, v56
	v_div_scale_f32 v66, null, v64, v64, v65
	s_delay_alu instid0(VALU_DEP_1) | instskip(SKIP_1) | instid1(TRANS32_DEP_1)
	v_rcp_f32_e32 v67, v66
	v_nop
	v_fma_f32 v68, -v66, v67, 1.0
	s_delay_alu instid0(VALU_DEP_1) | instskip(SKIP_1) | instid1(VALU_DEP_1)
	v_fmac_f32_e32 v67, v68, v67
	v_div_scale_f32 v68, vcc_lo, v65, v64, v65
	v_mul_f32_e32 v69, v68, v67
	s_delay_alu instid0(VALU_DEP_1) | instskip(NEXT) | instid1(VALU_DEP_1)
	v_fma_f32 v70, -v66, v69, v68
	v_fmac_f32_e32 v69, v70, v67
	v_fma_mix_f32_bf16 v70, -v57, v50, v50 op_sel:[0,1,1] op_sel_hi:[0,1,1]
	s_delay_alu instid0(VALU_DEP_2) | instskip(SKIP_1) | instid1(VALU_DEP_2)
	v_fma_f32 v66, -v66, v69, v68
	v_and_b32_e32 v68, 0xffff0000, v50
	v_div_fmas_f32 v66, v66, v67, v69
	s_delay_alu instid0(VALU_DEP_2) | instskip(NEXT) | instid1(VALU_DEP_2)
	v_cndmask_b32_e64 v67, v68, v70, s0
	v_div_fixup_f32 v64, v66, v64, v65
	s_delay_alu instid0(VALU_DEP_1) | instskip(NEXT) | instid1(VALU_DEP_1)
	v_sub_f32_e32 v66, v67, v64
	v_bfe_u32 v64, v66, 16, 1
	s_delay_alu instid0(VALU_DEP_1) | instskip(NEXT) | instid1(VALU_DEP_1)
	v_add3_u32 v64, v66, v64, 0x7fff
	v_lshrrev_b32_e32 v67, 16, v64
	v_cmp_o_f32_e32 vcc_lo, v66, v66
	v_add_nc_u64_e32 v[64:65], s[6:7], v[40:41]
	s_delay_alu instid0(VALU_DEP_3)
	v_cndmask_b32_e32 v66, 0x7fc0, v67, vcc_lo
	global_store_b16 v[64:65], v66, off
.LBB4_68:                               ;   in Loop: Header=BB4_34 Depth=1
	s_wait_xcnt 0x0
	s_or_b32 exec_lo, exec_lo, s17
	v_cndmask_b32_e64 v63, v63, -v63, s26
	v_alignbit_b32 v54, v55, v54, 16
	v_alignbit_b32 v52, v53, v52, 16
	s_delay_alu instid0(VALU_DEP_3) | instskip(NEXT) | instid1(VALU_DEP_1)
	v_mul_f32_e32 v64, v63, v63
	v_dual_fma_f32 v64, -v2, v64, v64 :: v_dual_fma_f32 v63, -v3, v63, v63
	s_delay_alu instid0(VALU_DEP_1) | instskip(NEXT) | instid1(VALU_DEP_2)
	v_fma_mix_f32_bf16 v52, v2, v52, v64 op_sel:[0,1,0] op_sel_hi:[0,1,0]
	v_fma_mix_f32_bf16 v54, v3, v54, v63 op_sel:[0,1,0] op_sel_hi:[0,1,0]
	s_and_saveexec_b32 s17, s3
	s_cbranch_execz .LBB4_70
; %bb.69:                               ;   in Loop: Header=BB4_34 Depth=1
	s_delay_alu instid0(VALU_DEP_2) | instskip(SKIP_2) | instid1(VALU_DEP_2)
	v_cmp_gt_f32_e32 vcc_lo, 0xf800000, v52
	v_mul_f32_e32 v63, 0x4f800000, v52
	v_alignbit_b32 v50, v51, v50, 16
	v_cndmask_b32_e32 v63, v52, v63, vcc_lo
	s_delay_alu instid0(VALU_DEP_1) | instskip(SKIP_1) | instid1(TRANS32_DEP_1)
	v_sqrt_f32_e32 v64, v63
	v_nop
	v_dual_add_nc_u32 v65, -1, v64 :: v_dual_add_nc_u32 v66, 1, v64
	s_delay_alu instid0(VALU_DEP_1) | instskip(NEXT) | instid1(VALU_DEP_1)
	v_fma_f32 v67, -v65, v64, v63
	v_cmp_ge_f32_e64 s5, 0, v67
	s_delay_alu instid0(VALU_DEP_1) | instskip(NEXT) | instid1(VALU_DEP_1)
	v_dual_fma_f32 v68, -v66, v64, v63 :: v_dual_cndmask_b32 v64, v64, v65, s5
	v_cmp_lt_f32_e64 s5, 0, v68
	s_delay_alu instid0(VALU_DEP_1) | instskip(NEXT) | instid1(VALU_DEP_1)
	v_cndmask_b32_e64 v64, v64, v66, s5
	v_mul_f32_e32 v65, 0x37800000, v64
	s_delay_alu instid0(VALU_DEP_1) | instskip(SKIP_1) | instid1(VALU_DEP_2)
	v_cndmask_b32_e32 v64, v64, v65, vcc_lo
	v_cmp_class_f32_e64 vcc_lo, v63, 0x260
	v_cndmask_b32_e32 v63, v64, v63, vcc_lo
	s_delay_alu instid0(VALU_DEP_1) | instskip(SKIP_1) | instid1(VALU_DEP_2)
	v_div_scale_f32 v64, null, s27, s27, v63
	v_div_scale_f32 v67, vcc_lo, v63, s27, v63
	v_rcp_f32_e32 v65, v64
	v_nop
	s_delay_alu instid0(TRANS32_DEP_1) | instskip(NEXT) | instid1(VALU_DEP_1)
	v_fma_f32 v66, -v64, v65, 1.0
	v_fmac_f32_e32 v65, v66, v65
	s_delay_alu instid0(VALU_DEP_1) | instskip(NEXT) | instid1(VALU_DEP_1)
	v_mul_f32_e32 v66, v67, v65
	v_fma_f32 v68, -v64, v66, v67
	s_delay_alu instid0(VALU_DEP_1) | instskip(NEXT) | instid1(VALU_DEP_1)
	v_fmac_f32_e32 v66, v68, v65
	v_fma_f32 v64, -v64, v66, v67
	s_delay_alu instid0(VALU_DEP_1) | instskip(NEXT) | instid1(VALU_DEP_1)
	v_div_fmas_f32 v64, v64, v65, v66
	v_div_fixup_f32 v63, v64, s27, v63
	s_delay_alu instid0(VALU_DEP_1) | instskip(NEXT) | instid1(VALU_DEP_1)
	v_dual_mul_f32 v64, v58, v54 :: v_dual_add_f32 v63, v63, v56
	v_div_scale_f32 v65, null, v63, v63, v64
	s_delay_alu instid0(VALU_DEP_1) | instskip(SKIP_1) | instid1(TRANS32_DEP_1)
	v_rcp_f32_e32 v66, v65
	v_nop
	v_fma_f32 v67, -v65, v66, 1.0
	s_delay_alu instid0(VALU_DEP_1) | instskip(SKIP_1) | instid1(VALU_DEP_1)
	v_fmac_f32_e32 v66, v67, v66
	v_div_scale_f32 v67, vcc_lo, v64, v63, v64
	v_mul_f32_e32 v68, v67, v66
	s_delay_alu instid0(VALU_DEP_1) | instskip(NEXT) | instid1(VALU_DEP_1)
	v_fma_f32 v69, -v65, v68, v67
	v_fmac_f32_e32 v68, v69, v66
	s_delay_alu instid0(VALU_DEP_1) | instskip(SKIP_2) | instid1(VALU_DEP_1)
	v_fma_f32 v65, -v65, v68, v67
	v_and_b32_e32 v67, 0xffff0000, v50
	v_fma_mix_f32_bf16 v50, -v57, v50, v50 op_sel:[0,1,1] op_sel_hi:[0,1,1]
	v_cndmask_b32_e64 v50, v67, v50, s0
	s_delay_alu instid0(VALU_DEP_4) | instskip(NEXT) | instid1(VALU_DEP_1)
	v_div_fmas_f32 v65, v65, v66, v68
	v_div_fixup_f32 v63, v65, v63, v64
	v_add_nc_u64_e32 v[64:65], s[6:7], v[30:31]
	s_delay_alu instid0(VALU_DEP_2) | instskip(NEXT) | instid1(VALU_DEP_1)
	v_sub_f32_e32 v50, v50, v63
	v_bfe_u32 v63, v50, 16, 1
	v_cmp_o_f32_e32 vcc_lo, v50, v50
	s_delay_alu instid0(VALU_DEP_2) | instskip(NEXT) | instid1(VALU_DEP_1)
	v_add3_u32 v63, v50, v63, 0x7fff
	v_lshrrev_b32_e32 v63, 16, v63
	s_delay_alu instid0(VALU_DEP_1)
	v_cndmask_b32_e32 v50, 0x7fc0, v63, vcc_lo
	global_store_b16 v[64:65], v50, off
.LBB4_70:                               ;   in Loop: Header=BB4_34 Depth=1
	s_wait_xcnt 0x0
	s_or_b32 exec_lo, exec_lo, s17
	v_cndmask_b32_e64 v50, v62, -v62, s26
	s_delay_alu instid0(VALU_DEP_1) | instskip(NEXT) | instid1(VALU_DEP_1)
	v_dual_mul_f32 v62, v50, v50 :: v_dual_fma_f32 v50, -v3, v50, v50
	v_fma_f32 v62, -v2, v62, v62
	s_delay_alu instid0(VALU_DEP_2) | instskip(NEXT) | instid1(VALU_DEP_2)
	v_fma_mix_f32_bf16 v55, v3, v55, v50 op_sel:[0,1,0] op_sel_hi:[0,1,0]
	v_fma_mix_f32_bf16 v50, v2, v53, v62 op_sel:[0,1,0] op_sel_hi:[0,1,0]
	s_and_saveexec_b32 s17, s4
	s_cbranch_execz .LBB4_72
; %bb.71:                               ;   in Loop: Header=BB4_34 Depth=1
	s_delay_alu instid0(VALU_DEP_1) | instskip(SKIP_1) | instid1(VALU_DEP_1)
	v_cmp_gt_f32_e32 vcc_lo, 0xf800000, v50
	v_mul_f32_e32 v53, 0x4f800000, v50
	v_cndmask_b32_e32 v53, v50, v53, vcc_lo
	s_delay_alu instid0(VALU_DEP_1) | instskip(SKIP_1) | instid1(TRANS32_DEP_1)
	v_sqrt_f32_e32 v62, v53
	v_nop
	v_dual_add_nc_u32 v63, -1, v62 :: v_dual_add_nc_u32 v64, 1, v62
	s_delay_alu instid0(VALU_DEP_1) | instskip(NEXT) | instid1(VALU_DEP_1)
	v_fma_f32 v65, -v63, v62, v53
	v_cmp_ge_f32_e64 s5, 0, v65
	s_delay_alu instid0(VALU_DEP_1) | instskip(NEXT) | instid1(VALU_DEP_1)
	v_dual_fma_f32 v66, -v64, v62, v53 :: v_dual_cndmask_b32 v62, v62, v63, s5
	v_cmp_lt_f32_e64 s5, 0, v66
	s_delay_alu instid0(VALU_DEP_1) | instskip(NEXT) | instid1(VALU_DEP_1)
	v_cndmask_b32_e64 v62, v62, v64, s5
	v_mul_f32_e32 v63, 0x37800000, v62
	s_delay_alu instid0(VALU_DEP_1) | instskip(SKIP_1) | instid1(VALU_DEP_2)
	v_cndmask_b32_e32 v62, v62, v63, vcc_lo
	v_cmp_class_f32_e64 vcc_lo, v53, 0x260
	v_cndmask_b32_e32 v53, v62, v53, vcc_lo
	s_delay_alu instid0(VALU_DEP_1) | instskip(SKIP_1) | instid1(VALU_DEP_2)
	v_div_scale_f32 v62, null, s27, s27, v53
	v_div_scale_f32 v65, vcc_lo, v53, s27, v53
	v_rcp_f32_e32 v63, v62
	v_nop
	s_delay_alu instid0(TRANS32_DEP_1) | instskip(NEXT) | instid1(VALU_DEP_1)
	v_fma_f32 v64, -v62, v63, 1.0
	v_fmac_f32_e32 v63, v64, v63
	s_delay_alu instid0(VALU_DEP_1) | instskip(NEXT) | instid1(VALU_DEP_1)
	v_mul_f32_e32 v64, v65, v63
	v_fma_f32 v66, -v62, v64, v65
	s_delay_alu instid0(VALU_DEP_1) | instskip(NEXT) | instid1(VALU_DEP_1)
	v_fmac_f32_e32 v64, v66, v63
	v_fma_f32 v62, -v62, v64, v65
	s_delay_alu instid0(VALU_DEP_1) | instskip(NEXT) | instid1(VALU_DEP_1)
	v_div_fmas_f32 v62, v62, v63, v64
	v_div_fixup_f32 v53, v62, s27, v53
	s_delay_alu instid0(VALU_DEP_1) | instskip(NEXT) | instid1(VALU_DEP_1)
	v_dual_mul_f32 v62, v58, v55 :: v_dual_add_f32 v53, v53, v56
	v_div_scale_f32 v63, null, v53, v53, v62
	s_delay_alu instid0(VALU_DEP_1) | instskip(SKIP_1) | instid1(TRANS32_DEP_1)
	v_rcp_f32_e32 v64, v63
	v_nop
	v_fma_f32 v65, -v63, v64, 1.0
	s_delay_alu instid0(VALU_DEP_1) | instskip(SKIP_1) | instid1(VALU_DEP_1)
	v_fmac_f32_e32 v64, v65, v64
	v_div_scale_f32 v65, vcc_lo, v62, v53, v62
	v_mul_f32_e32 v66, v65, v64
	s_delay_alu instid0(VALU_DEP_1) | instskip(NEXT) | instid1(VALU_DEP_1)
	v_fma_f32 v67, -v63, v66, v65
	v_fmac_f32_e32 v66, v67, v64
	s_delay_alu instid0(VALU_DEP_1) | instskip(SKIP_2) | instid1(VALU_DEP_3)
	v_fma_f32 v63, -v63, v66, v65
	v_and_b32_e32 v65, 0xffff0000, v51
	v_fma_mix_f32_bf16 v51, -v57, v51, v51 op_sel:[0,1,1] op_sel_hi:[0,1,1]
	v_div_fmas_f32 v63, v63, v64, v66
	s_delay_alu instid0(VALU_DEP_2) | instskip(NEXT) | instid1(VALU_DEP_2)
	v_cndmask_b32_e64 v51, v65, v51, s0
	v_div_fixup_f32 v53, v63, v53, v62
	v_add_nc_u64_e32 v[62:63], s[6:7], v[18:19]
	s_delay_alu instid0(VALU_DEP_2) | instskip(NEXT) | instid1(VALU_DEP_1)
	v_sub_f32_e32 v51, v51, v53
	v_bfe_u32 v53, v51, 16, 1
	v_cmp_o_f32_e32 vcc_lo, v51, v51
	s_delay_alu instid0(VALU_DEP_2) | instskip(NEXT) | instid1(VALU_DEP_1)
	v_add3_u32 v53, v51, v53, 0x7fff
	v_lshrrev_b32_e32 v53, 16, v53
	s_delay_alu instid0(VALU_DEP_1)
	v_cndmask_b32_e32 v51, 0x7fc0, v53, vcc_lo
	global_store_b16 v[62:63], v51, off
.LBB4_72:                               ;   in Loop: Header=BB4_34 Depth=1
	s_wait_xcnt 0x0
	s_or_b32 exec_lo, exec_lo, s17
	s_delay_alu instid0(SALU_CYCLE_1)
	s_and_not1_b32 vcc_lo, exec_lo, s16
	s_cbranch_vccnz .LBB4_79
; %bb.73:                               ;   in Loop: Header=BB4_34 Depth=1
	s_and_saveexec_b32 s5, s1
	s_cbranch_execnz .LBB4_97
; %bb.74:                               ;   in Loop: Header=BB4_34 Depth=1
	s_or_b32 exec_lo, exec_lo, s5
	s_and_saveexec_b32 s5, s2
	s_cbranch_execnz .LBB4_98
.LBB4_75:                               ;   in Loop: Header=BB4_34 Depth=1
	s_or_b32 exec_lo, exec_lo, s5
	s_and_saveexec_b32 s5, s3
	s_cbranch_execnz .LBB4_99
.LBB4_76:                               ;   in Loop: Header=BB4_34 Depth=1
	s_or_b32 exec_lo, exec_lo, s5
	s_and_saveexec_b32 s5, s4
	s_cbranch_execz .LBB4_78
.LBB4_77:                               ;   in Loop: Header=BB4_34 Depth=1
	v_add_nc_u64_e32 v[62:63], s[6:7], v[20:21]
	global_store_d16_hi_b16 v[62:63], v49, off
.LBB4_78:                               ;   in Loop: Header=BB4_34 Depth=1
	s_wait_xcnt 0x0
	s_or_b32 exec_lo, exec_lo, s5
.LBB4_79:                               ;   in Loop: Header=BB4_34 Depth=1
	s_and_saveexec_b32 s5, s1
	s_cbranch_execnz .LBB4_89
; %bb.80:                               ;   in Loop: Header=BB4_34 Depth=1
	s_or_b32 exec_lo, exec_lo, s5
	s_and_saveexec_b32 s5, s2
	s_cbranch_execnz .LBB4_90
.LBB4_81:                               ;   in Loop: Header=BB4_34 Depth=1
	s_or_b32 exec_lo, exec_lo, s5
	s_and_saveexec_b32 s5, s3
	s_cbranch_execnz .LBB4_91
.LBB4_82:                               ;   in Loop: Header=BB4_34 Depth=1
	s_or_b32 exec_lo, exec_lo, s5
	s_and_saveexec_b32 s5, s4
	s_cbranch_execnz .LBB4_92
.LBB4_83:                               ;   in Loop: Header=BB4_34 Depth=1
	s_or_b32 exec_lo, exec_lo, s5
	s_and_saveexec_b32 s5, s1
	s_cbranch_execnz .LBB4_93
.LBB4_84:                               ;   in Loop: Header=BB4_34 Depth=1
	s_or_b32 exec_lo, exec_lo, s5
	s_and_saveexec_b32 s1, s2
	s_cbranch_execnz .LBB4_94
.LBB4_85:                               ;   in Loop: Header=BB4_34 Depth=1
	s_or_b32 exec_lo, exec_lo, s1
	s_and_saveexec_b32 s1, s3
	s_cbranch_execnz .LBB4_95
.LBB4_86:                               ;   in Loop: Header=BB4_34 Depth=1
	s_or_b32 exec_lo, exec_lo, s1
	s_and_saveexec_b32 s1, s4
	s_cbranch_execz .LBB4_33
	s_branch .LBB4_96
.LBB4_87:                               ;   in Loop: Header=BB4_34 Depth=1
	v_add_nc_u64_e32 v[60:61], s[6:7], v[20:21]
	v_add_nc_u64_e32 v[62:63], s[6:7], v[18:19]
	global_load_u16 v7, v[60:61], off
	global_load_u16 v59, v[62:63], off
	s_wait_loadcnt 0x1
	v_lshlrev_b32_e32 v7, 16, v7
	s_wait_loadcnt 0x0
	v_lshlrev_b32_e32 v59, 16, v59
	s_delay_alu instid0(VALU_DEP_2) | instskip(NEXT) | instid1(VALU_DEP_2)
	v_add_nc_u64_e32 v[48:49], v[6:7], v[48:49]
	v_or_b32_e32 v51, v59, v51
	s_wait_xcnt 0x0
	s_or_b32 exec_lo, exec_lo, s5
	s_and_saveexec_b32 s5, s4
	s_cbranch_execz .LBB4_48
.LBB4_88:                               ;   in Loop: Header=BB4_34 Depth=1
	v_add_nc_u64_e32 v[60:61], s[6:7], v[26:27]
	v_add_nc_u64_e32 v[62:63], s[6:7], v[22:23]
	global_load_u16 v7, v[60:61], off
	global_load_u16 v59, v[62:63], off
	s_wait_loadcnt 0x1
	v_lshlrev_b32_e32 v7, 16, v7
	s_wait_loadcnt 0x0
	v_lshlrev_b32_e32 v59, 16, v59
	s_delay_alu instid0(VALU_DEP_2) | instskip(NEXT) | instid1(VALU_DEP_2)
	v_add_nc_u64_e32 v[52:53], v[6:7], v[52:53]
	v_or_b32_e32 v55, v59, v55
	s_wait_xcnt 0x0
	s_or_b32 exec_lo, exec_lo, s5
	v_lshlrev_b32_e32 v7, 16, v48
	s_and_not1_b32 vcc_lo, exec_lo, s16
	s_cbranch_vccz .LBB4_49
	s_branch .LBB4_50
.LBB4_89:                               ;   in Loop: Header=BB4_34 Depth=1
	v_bfe_u32 v48, v59, 16, 1
	v_cmp_o_f32_e32 vcc_lo, v59, v59
	s_delay_alu instid0(VALU_DEP_2) | instskip(NEXT) | instid1(VALU_DEP_1)
	v_add3_u32 v48, v59, v48, 0x7fff
	v_lshrrev_b32_e32 v51, 16, v48
	v_add_nc_u64_e32 v[48:49], s[6:7], v[14:15]
	s_delay_alu instid0(VALU_DEP_2)
	v_cndmask_b32_e32 v51, 0x7fc0, v51, vcc_lo
	global_store_b16 v[48:49], v51, off
	s_wait_xcnt 0x0
	s_or_b32 exec_lo, exec_lo, s5
	s_and_saveexec_b32 s5, s2
	s_cbranch_execz .LBB4_81
.LBB4_90:                               ;   in Loop: Header=BB4_34 Depth=1
	v_bfe_u32 v48, v61, 16, 1
	v_cmp_o_f32_e32 vcc_lo, v61, v61
	s_delay_alu instid0(VALU_DEP_2) | instskip(NEXT) | instid1(VALU_DEP_1)
	v_add3_u32 v48, v61, v48, 0x7fff
	v_lshrrev_b32_e32 v51, 16, v48
	v_add_nc_u64_e32 v[48:49], s[6:7], v[44:45]
	s_delay_alu instid0(VALU_DEP_2)
	v_cndmask_b32_e32 v51, 0x7fc0, v51, vcc_lo
	global_store_b16 v[48:49], v51, off
	s_wait_xcnt 0x0
	s_or_b32 exec_lo, exec_lo, s5
	s_and_saveexec_b32 s5, s3
	s_cbranch_execz .LBB4_82
.LBB4_91:                               ;   in Loop: Header=BB4_34 Depth=1
	v_bfe_u32 v48, v54, 16, 1
	v_cmp_o_f32_e32 vcc_lo, v54, v54
	s_delay_alu instid0(VALU_DEP_2) | instskip(NEXT) | instid1(VALU_DEP_1)
	v_add3_u32 v48, v54, v48, 0x7fff
	v_lshrrev_b32_e32 v51, 16, v48
	v_add_nc_u64_e32 v[48:49], s[6:7], v[34:35]
	s_delay_alu instid0(VALU_DEP_2)
	v_cndmask_b32_e32 v51, 0x7fc0, v51, vcc_lo
	global_store_b16 v[48:49], v51, off
	s_wait_xcnt 0x0
	s_or_b32 exec_lo, exec_lo, s5
	s_and_saveexec_b32 s5, s4
	s_cbranch_execz .LBB4_83
.LBB4_92:                               ;   in Loop: Header=BB4_34 Depth=1
	v_bfe_u32 v48, v55, 16, 1
	v_cmp_o_f32_e32 vcc_lo, v55, v55
	s_delay_alu instid0(VALU_DEP_2) | instskip(NEXT) | instid1(VALU_DEP_1)
	v_add3_u32 v48, v55, v48, 0x7fff
	v_lshrrev_b32_e32 v51, 16, v48
	v_add_nc_u64_e32 v[48:49], s[6:7], v[22:23]
	s_delay_alu instid0(VALU_DEP_2)
	v_cndmask_b32_e32 v51, 0x7fc0, v51, vcc_lo
	global_store_b16 v[48:49], v51, off
	s_wait_xcnt 0x0
	s_or_b32 exec_lo, exec_lo, s5
	s_and_saveexec_b32 s5, s1
	s_cbranch_execz .LBB4_84
.LBB4_93:                               ;   in Loop: Header=BB4_34 Depth=1
	v_bfe_u32 v48, v7, 16, 1
	v_cmp_o_f32_e32 vcc_lo, v7, v7
	s_delay_alu instid0(VALU_DEP_2) | instskip(NEXT) | instid1(VALU_DEP_1)
	v_add3_u32 v48, v7, v48, 0x7fff
	v_lshrrev_b32_e32 v51, 16, v48
	v_add_nc_u64_e32 v[48:49], s[6:7], v[16:17]
	s_delay_alu instid0(VALU_DEP_2)
	v_cndmask_b32_e32 v7, 0x7fc0, v51, vcc_lo
	global_store_b16 v[48:49], v7, off
	s_wait_xcnt 0x0
	s_or_b32 exec_lo, exec_lo, s5
	s_and_saveexec_b32 s1, s2
	s_cbranch_execz .LBB4_85
.LBB4_94:                               ;   in Loop: Header=BB4_34 Depth=1
	v_bfe_u32 v7, v60, 16, 1
	v_cmp_o_f32_e32 vcc_lo, v60, v60
	v_add_nc_u64_e32 v[48:49], s[6:7], v[46:47]
	s_delay_alu instid0(VALU_DEP_3) | instskip(NEXT) | instid1(VALU_DEP_1)
	v_add3_u32 v7, v60, v7, 0x7fff
	v_lshrrev_b32_e32 v7, 16, v7
	s_delay_alu instid0(VALU_DEP_1)
	v_cndmask_b32_e32 v7, 0x7fc0, v7, vcc_lo
	global_store_b16 v[48:49], v7, off
	s_wait_xcnt 0x0
	s_or_b32 exec_lo, exec_lo, s1
	s_and_saveexec_b32 s1, s3
	s_cbranch_execz .LBB4_86
.LBB4_95:                               ;   in Loop: Header=BB4_34 Depth=1
	v_bfe_u32 v7, v52, 16, 1
	v_cmp_o_f32_e32 vcc_lo, v52, v52
	v_add_nc_u64_e32 v[48:49], s[6:7], v[36:37]
	s_delay_alu instid0(VALU_DEP_3) | instskip(NEXT) | instid1(VALU_DEP_1)
	v_add3_u32 v7, v52, v7, 0x7fff
	v_lshrrev_b32_e32 v7, 16, v7
	s_delay_alu instid0(VALU_DEP_1)
	v_cndmask_b32_e32 v7, 0x7fc0, v7, vcc_lo
	global_store_b16 v[48:49], v7, off
	s_wait_xcnt 0x0
	s_or_b32 exec_lo, exec_lo, s1
	s_and_saveexec_b32 s1, s4
	s_cbranch_execz .LBB4_33
.LBB4_96:                               ;   in Loop: Header=BB4_34 Depth=1
	v_bfe_u32 v7, v50, 16, 1
	v_cmp_o_f32_e32 vcc_lo, v50, v50
	v_add_nc_u64_e32 v[48:49], s[6:7], v[26:27]
	s_delay_alu instid0(VALU_DEP_3) | instskip(NEXT) | instid1(VALU_DEP_1)
	v_add3_u32 v7, v50, v7, 0x7fff
	v_lshrrev_b32_e32 v7, 16, v7
	s_delay_alu instid0(VALU_DEP_1)
	v_cndmask_b32_e32 v7, 0x7fc0, v7, vcc_lo
	global_store_b16 v[48:49], v7, off
	s_branch .LBB4_33
.LBB4_97:                               ;   in Loop: Header=BB4_34 Depth=1
	v_add_nc_u64_e32 v[62:63], s[6:7], v[12:13]
	global_store_b16 v[62:63], v48, off
	s_wait_xcnt 0x0
	s_or_b32 exec_lo, exec_lo, s5
	s_and_saveexec_b32 s5, s2
	s_cbranch_execz .LBB4_75
.LBB4_98:                               ;   in Loop: Header=BB4_34 Depth=1
	v_add_nc_u64_e32 v[62:63], s[6:7], v[42:43]
	global_store_d16_hi_b16 v[62:63], v48, off
	s_wait_xcnt 0x0
	s_or_b32 exec_lo, exec_lo, s5
	s_and_saveexec_b32 s5, s3
	s_cbranch_execz .LBB4_76
.LBB4_99:                               ;   in Loop: Header=BB4_34 Depth=1
	v_add_nc_u64_e32 v[62:63], s[6:7], v[32:33]
	global_store_b16 v[62:63], v49, off
	s_wait_xcnt 0x0
	s_or_b32 exec_lo, exec_lo, s5
	s_and_saveexec_b32 s5, s4
	s_cbranch_execnz .LBB4_77
	s_branch .LBB4_78
.LBB4_100:
	s_sendmsg sendmsg(MSG_DEALLOC_VGPRS)
	s_endpgm
	.section	.rodata,"a",@progbits
	.p2align	6, 0x0
	.amdhsa_kernel _ZN2at6native12_GLOBAL__N_125multi_tensor_apply_kernelINS1_32FusedOptimizerTensorListMetadataILi4EEENS1_20FusedAdamMathFunctorIN3c108BFloat16ELi4ELNS0_9ADAM_MODEE1ELb0EEEJPKfdddddbSB_SB_EEEvT_T0_DpT1_
		.amdhsa_group_segment_fixed_size 0
		.amdhsa_private_segment_fixed_size 0
		.amdhsa_kernarg_size 3672
		.amdhsa_user_sgpr_count 2
		.amdhsa_user_sgpr_dispatch_ptr 0
		.amdhsa_user_sgpr_queue_ptr 0
		.amdhsa_user_sgpr_kernarg_segment_ptr 1
		.amdhsa_user_sgpr_dispatch_id 0
		.amdhsa_user_sgpr_kernarg_preload_length 0
		.amdhsa_user_sgpr_kernarg_preload_offset 0
		.amdhsa_user_sgpr_private_segment_size 0
		.amdhsa_wavefront_size32 1
		.amdhsa_uses_dynamic_stack 0
		.amdhsa_enable_private_segment 0
		.amdhsa_system_sgpr_workgroup_id_x 1
		.amdhsa_system_sgpr_workgroup_id_y 0
		.amdhsa_system_sgpr_workgroup_id_z 0
		.amdhsa_system_sgpr_workgroup_info 0
		.amdhsa_system_vgpr_workitem_id 0
		.amdhsa_next_free_vgpr 71
		.amdhsa_next_free_sgpr 29
		.amdhsa_named_barrier_count 0
		.amdhsa_reserve_vcc 1
		.amdhsa_float_round_mode_32 0
		.amdhsa_float_round_mode_16_64 0
		.amdhsa_float_denorm_mode_32 3
		.amdhsa_float_denorm_mode_16_64 3
		.amdhsa_fp16_overflow 0
		.amdhsa_memory_ordered 1
		.amdhsa_forward_progress 1
		.amdhsa_inst_pref_size 94
		.amdhsa_round_robin_scheduling 0
		.amdhsa_exception_fp_ieee_invalid_op 0
		.amdhsa_exception_fp_denorm_src 0
		.amdhsa_exception_fp_ieee_div_zero 0
		.amdhsa_exception_fp_ieee_overflow 0
		.amdhsa_exception_fp_ieee_underflow 0
		.amdhsa_exception_fp_ieee_inexact 0
		.amdhsa_exception_int_div_zero 0
	.end_amdhsa_kernel
	.section	.text._ZN2at6native12_GLOBAL__N_125multi_tensor_apply_kernelINS1_32FusedOptimizerTensorListMetadataILi4EEENS1_20FusedAdamMathFunctorIN3c108BFloat16ELi4ELNS0_9ADAM_MODEE1ELb0EEEJPKfdddddbSB_SB_EEEvT_T0_DpT1_,"axG",@progbits,_ZN2at6native12_GLOBAL__N_125multi_tensor_apply_kernelINS1_32FusedOptimizerTensorListMetadataILi4EEENS1_20FusedAdamMathFunctorIN3c108BFloat16ELi4ELNS0_9ADAM_MODEE1ELb0EEEJPKfdddddbSB_SB_EEEvT_T0_DpT1_,comdat
.Lfunc_end4:
	.size	_ZN2at6native12_GLOBAL__N_125multi_tensor_apply_kernelINS1_32FusedOptimizerTensorListMetadataILi4EEENS1_20FusedAdamMathFunctorIN3c108BFloat16ELi4ELNS0_9ADAM_MODEE1ELb0EEEJPKfdddddbSB_SB_EEEvT_T0_DpT1_, .Lfunc_end4-_ZN2at6native12_GLOBAL__N_125multi_tensor_apply_kernelINS1_32FusedOptimizerTensorListMetadataILi4EEENS1_20FusedAdamMathFunctorIN3c108BFloat16ELi4ELNS0_9ADAM_MODEE1ELb0EEEJPKfdddddbSB_SB_EEEvT_T0_DpT1_
                                        ; -- End function
	.set _ZN2at6native12_GLOBAL__N_125multi_tensor_apply_kernelINS1_32FusedOptimizerTensorListMetadataILi4EEENS1_20FusedAdamMathFunctorIN3c108BFloat16ELi4ELNS0_9ADAM_MODEE1ELb0EEEJPKfdddddbSB_SB_EEEvT_T0_DpT1_.num_vgpr, 71
	.set _ZN2at6native12_GLOBAL__N_125multi_tensor_apply_kernelINS1_32FusedOptimizerTensorListMetadataILi4EEENS1_20FusedAdamMathFunctorIN3c108BFloat16ELi4ELNS0_9ADAM_MODEE1ELb0EEEJPKfdddddbSB_SB_EEEvT_T0_DpT1_.num_agpr, 0
	.set _ZN2at6native12_GLOBAL__N_125multi_tensor_apply_kernelINS1_32FusedOptimizerTensorListMetadataILi4EEENS1_20FusedAdamMathFunctorIN3c108BFloat16ELi4ELNS0_9ADAM_MODEE1ELb0EEEJPKfdddddbSB_SB_EEEvT_T0_DpT1_.numbered_sgpr, 29
	.set _ZN2at6native12_GLOBAL__N_125multi_tensor_apply_kernelINS1_32FusedOptimizerTensorListMetadataILi4EEENS1_20FusedAdamMathFunctorIN3c108BFloat16ELi4ELNS0_9ADAM_MODEE1ELb0EEEJPKfdddddbSB_SB_EEEvT_T0_DpT1_.num_named_barrier, 0
	.set _ZN2at6native12_GLOBAL__N_125multi_tensor_apply_kernelINS1_32FusedOptimizerTensorListMetadataILi4EEENS1_20FusedAdamMathFunctorIN3c108BFloat16ELi4ELNS0_9ADAM_MODEE1ELb0EEEJPKfdddddbSB_SB_EEEvT_T0_DpT1_.private_seg_size, 0
	.set _ZN2at6native12_GLOBAL__N_125multi_tensor_apply_kernelINS1_32FusedOptimizerTensorListMetadataILi4EEENS1_20FusedAdamMathFunctorIN3c108BFloat16ELi4ELNS0_9ADAM_MODEE1ELb0EEEJPKfdddddbSB_SB_EEEvT_T0_DpT1_.uses_vcc, 1
	.set _ZN2at6native12_GLOBAL__N_125multi_tensor_apply_kernelINS1_32FusedOptimizerTensorListMetadataILi4EEENS1_20FusedAdamMathFunctorIN3c108BFloat16ELi4ELNS0_9ADAM_MODEE1ELb0EEEJPKfdddddbSB_SB_EEEvT_T0_DpT1_.uses_flat_scratch, 0
	.set _ZN2at6native12_GLOBAL__N_125multi_tensor_apply_kernelINS1_32FusedOptimizerTensorListMetadataILi4EEENS1_20FusedAdamMathFunctorIN3c108BFloat16ELi4ELNS0_9ADAM_MODEE1ELb0EEEJPKfdddddbSB_SB_EEEvT_T0_DpT1_.has_dyn_sized_stack, 0
	.set _ZN2at6native12_GLOBAL__N_125multi_tensor_apply_kernelINS1_32FusedOptimizerTensorListMetadataILi4EEENS1_20FusedAdamMathFunctorIN3c108BFloat16ELi4ELNS0_9ADAM_MODEE1ELb0EEEJPKfdddddbSB_SB_EEEvT_T0_DpT1_.has_recursion, 0
	.set _ZN2at6native12_GLOBAL__N_125multi_tensor_apply_kernelINS1_32FusedOptimizerTensorListMetadataILi4EEENS1_20FusedAdamMathFunctorIN3c108BFloat16ELi4ELNS0_9ADAM_MODEE1ELb0EEEJPKfdddddbSB_SB_EEEvT_T0_DpT1_.has_indirect_call, 0
	.section	.AMDGPU.csdata,"",@progbits
; Kernel info:
; codeLenInByte = 11908
; TotalNumSgprs: 31
; NumVgprs: 71
; ScratchSize: 0
; MemoryBound: 0
; FloatMode: 240
; IeeeMode: 1
; LDSByteSize: 0 bytes/workgroup (compile time only)
; SGPRBlocks: 0
; VGPRBlocks: 4
; NumSGPRsForWavesPerEU: 31
; NumVGPRsForWavesPerEU: 71
; NamedBarCnt: 0
; Occupancy: 12
; WaveLimiterHint : 0
; COMPUTE_PGM_RSRC2:SCRATCH_EN: 0
; COMPUTE_PGM_RSRC2:USER_SGPR: 2
; COMPUTE_PGM_RSRC2:TRAP_HANDLER: 0
; COMPUTE_PGM_RSRC2:TGID_X_EN: 1
; COMPUTE_PGM_RSRC2:TGID_Y_EN: 0
; COMPUTE_PGM_RSRC2:TGID_Z_EN: 0
; COMPUTE_PGM_RSRC2:TIDIG_COMP_CNT: 0
	.section	.AMDGPU.gpr_maximums,"",@progbits
	.set amdgpu.max_num_vgpr, 0
	.set amdgpu.max_num_agpr, 0
	.set amdgpu.max_num_sgpr, 0
	.section	.AMDGPU.csdata,"",@progbits
	.type	__hip_cuid_7f9c9e6230a15e49,@object ; @__hip_cuid_7f9c9e6230a15e49
	.section	.bss,"aw",@nobits
	.globl	__hip_cuid_7f9c9e6230a15e49
__hip_cuid_7f9c9e6230a15e49:
	.byte	0                               ; 0x0
	.size	__hip_cuid_7f9c9e6230a15e49, 1

	.ident	"AMD clang version 22.0.0git (https://github.com/RadeonOpenCompute/llvm-project roc-7.2.4 26084 f58b06dce1f9c15707c5f808fd002e18c2accf7e)"
	.section	".note.GNU-stack","",@progbits
	.addrsig
	.addrsig_sym __hip_cuid_7f9c9e6230a15e49
	.amdgpu_metadata
---
amdhsa.kernels:
  - .args:
      - .offset:         0
        .size:           3336
        .value_kind:     by_value
      - .offset:         3336
        .size:           1
        .value_kind:     by_value
      - .address_space:  global
        .offset:         3344
        .size:           8
        .value_kind:     global_buffer
      - .offset:         3352
        .size:           8
        .value_kind:     by_value
      - .offset:         3360
        .size:           8
        .value_kind:     by_value
      - .offset:         3368
        .size:           8
        .value_kind:     by_value
      - .offset:         3376
        .size:           8
        .value_kind:     by_value
      - .offset:         3384
        .size:           8
        .value_kind:     by_value
      - .offset:         3392
        .size:           1
        .value_kind:     by_value
      - .address_space:  global
        .offset:         3400
        .size:           8
        .value_kind:     global_buffer
      - .address_space:  global
        .offset:         3408
        .size:           8
        .value_kind:     global_buffer
      - .offset:         3416
        .size:           4
        .value_kind:     hidden_block_count_x
      - .offset:         3420
        .size:           4
        .value_kind:     hidden_block_count_y
      - .offset:         3424
        .size:           4
        .value_kind:     hidden_block_count_z
      - .offset:         3428
        .size:           2
        .value_kind:     hidden_group_size_x
      - .offset:         3430
        .size:           2
        .value_kind:     hidden_group_size_y
      - .offset:         3432
        .size:           2
        .value_kind:     hidden_group_size_z
      - .offset:         3434
        .size:           2
        .value_kind:     hidden_remainder_x
      - .offset:         3436
        .size:           2
        .value_kind:     hidden_remainder_y
      - .offset:         3438
        .size:           2
        .value_kind:     hidden_remainder_z
      - .offset:         3456
        .size:           8
        .value_kind:     hidden_global_offset_x
      - .offset:         3464
        .size:           8
        .value_kind:     hidden_global_offset_y
      - .offset:         3472
        .size:           8
        .value_kind:     hidden_global_offset_z
      - .offset:         3480
        .size:           2
        .value_kind:     hidden_grid_dims
    .group_segment_fixed_size: 0
    .kernarg_segment_align: 8
    .kernarg_segment_size: 3672
    .language:       OpenCL C
    .language_version:
      - 2
      - 0
    .max_flat_workgroup_size: 512
    .name:           _ZN2at6native12_GLOBAL__N_125multi_tensor_apply_kernelINS1_32FusedOptimizerTensorListMetadataILi4EEENS1_22FusedAdamMathFunctorMPIfffN3c108BFloat16ES7_fLi4ELNS0_9ADAM_MODEE1ELb0EEEJPKfdddddbSB_SB_EEEvT_T0_DpT1_
    .private_segment_fixed_size: 0
    .sgpr_count:     49
    .sgpr_spill_count: 0
    .symbol:         _ZN2at6native12_GLOBAL__N_125multi_tensor_apply_kernelINS1_32FusedOptimizerTensorListMetadataILi4EEENS1_22FusedAdamMathFunctorMPIfffN3c108BFloat16ES7_fLi4ELNS0_9ADAM_MODEE1ELb0EEEJPKfdddddbSB_SB_EEEvT_T0_DpT1_.kd
    .uniform_work_group_size: 1
    .uses_dynamic_stack: false
    .vgpr_count:     71
    .vgpr_spill_count: 0
    .wavefront_size: 32
  - .args:
      - .offset:         0
        .size:           3336
        .value_kind:     by_value
      - .offset:         3336
        .size:           1
        .value_kind:     by_value
      - .address_space:  global
        .offset:         3344
        .size:           8
        .value_kind:     global_buffer
      - .offset:         3352
        .size:           8
        .value_kind:     by_value
      - .offset:         3360
        .size:           8
        .value_kind:     by_value
      - .offset:         3368
        .size:           8
        .value_kind:     by_value
      - .offset:         3376
        .size:           8
        .value_kind:     by_value
      - .offset:         3384
        .size:           8
        .value_kind:     by_value
      - .offset:         3392
        .size:           1
        .value_kind:     by_value
      - .address_space:  global
        .offset:         3400
        .size:           8
        .value_kind:     global_buffer
      - .address_space:  global
        .offset:         3408
        .size:           8
        .value_kind:     global_buffer
      - .offset:         3416
        .size:           4
        .value_kind:     hidden_block_count_x
      - .offset:         3420
        .size:           4
        .value_kind:     hidden_block_count_y
      - .offset:         3424
        .size:           4
        .value_kind:     hidden_block_count_z
      - .offset:         3428
        .size:           2
        .value_kind:     hidden_group_size_x
      - .offset:         3430
        .size:           2
        .value_kind:     hidden_group_size_y
      - .offset:         3432
        .size:           2
        .value_kind:     hidden_group_size_z
      - .offset:         3434
        .size:           2
        .value_kind:     hidden_remainder_x
      - .offset:         3436
        .size:           2
        .value_kind:     hidden_remainder_y
      - .offset:         3438
        .size:           2
        .value_kind:     hidden_remainder_z
      - .offset:         3456
        .size:           8
        .value_kind:     hidden_global_offset_x
      - .offset:         3464
        .size:           8
        .value_kind:     hidden_global_offset_y
      - .offset:         3472
        .size:           8
        .value_kind:     hidden_global_offset_z
      - .offset:         3480
        .size:           2
        .value_kind:     hidden_grid_dims
    .group_segment_fixed_size: 0
    .kernarg_segment_align: 8
    .kernarg_segment_size: 3672
    .language:       OpenCL C
    .language_version:
      - 2
      - 0
    .max_flat_workgroup_size: 512
    .name:           _ZN2at6native12_GLOBAL__N_125multi_tensor_apply_kernelINS1_32FusedOptimizerTensorListMetadataILi4EEENS1_20FusedAdamMathFunctorIdLi4ELNS0_9ADAM_MODEE1ELb0EEEJPKfdddddbS9_S9_EEEvT_T0_DpT1_
    .private_segment_fixed_size: 0
    .sgpr_count:     46
    .sgpr_spill_count: 0
    .symbol:         _ZN2at6native12_GLOBAL__N_125multi_tensor_apply_kernelINS1_32FusedOptimizerTensorListMetadataILi4EEENS1_20FusedAdamMathFunctorIdLi4ELNS0_9ADAM_MODEE1ELb0EEEJPKfdddddbS9_S9_EEEvT_T0_DpT1_.kd
    .uniform_work_group_size: 1
    .uses_dynamic_stack: false
    .vgpr_count:     98
    .vgpr_spill_count: 0
    .wavefront_size: 32
  - .args:
      - .offset:         0
        .size:           3336
        .value_kind:     by_value
      - .offset:         3336
        .size:           1
        .value_kind:     by_value
      - .address_space:  global
        .offset:         3344
        .size:           8
        .value_kind:     global_buffer
      - .offset:         3352
        .size:           8
        .value_kind:     by_value
      - .offset:         3360
        .size:           8
        .value_kind:     by_value
      - .offset:         3368
        .size:           8
        .value_kind:     by_value
      - .offset:         3376
        .size:           8
        .value_kind:     by_value
      - .offset:         3384
        .size:           8
        .value_kind:     by_value
      - .offset:         3392
        .size:           1
        .value_kind:     by_value
      - .address_space:  global
        .offset:         3400
        .size:           8
        .value_kind:     global_buffer
      - .address_space:  global
        .offset:         3408
        .size:           8
        .value_kind:     global_buffer
      - .offset:         3416
        .size:           4
        .value_kind:     hidden_block_count_x
      - .offset:         3420
        .size:           4
        .value_kind:     hidden_block_count_y
      - .offset:         3424
        .size:           4
        .value_kind:     hidden_block_count_z
      - .offset:         3428
        .size:           2
        .value_kind:     hidden_group_size_x
      - .offset:         3430
        .size:           2
        .value_kind:     hidden_group_size_y
      - .offset:         3432
        .size:           2
        .value_kind:     hidden_group_size_z
      - .offset:         3434
        .size:           2
        .value_kind:     hidden_remainder_x
      - .offset:         3436
        .size:           2
        .value_kind:     hidden_remainder_y
      - .offset:         3438
        .size:           2
        .value_kind:     hidden_remainder_z
      - .offset:         3456
        .size:           8
        .value_kind:     hidden_global_offset_x
      - .offset:         3464
        .size:           8
        .value_kind:     hidden_global_offset_y
      - .offset:         3472
        .size:           8
        .value_kind:     hidden_global_offset_z
      - .offset:         3480
        .size:           2
        .value_kind:     hidden_grid_dims
    .group_segment_fixed_size: 0
    .kernarg_segment_align: 8
    .kernarg_segment_size: 3672
    .language:       OpenCL C
    .language_version:
      - 2
      - 0
    .max_flat_workgroup_size: 512
    .name:           _ZN2at6native12_GLOBAL__N_125multi_tensor_apply_kernelINS1_32FusedOptimizerTensorListMetadataILi4EEENS1_20FusedAdamMathFunctorIfLi4ELNS0_9ADAM_MODEE1ELb0EEEJPKfdddddbS9_S9_EEEvT_T0_DpT1_
    .private_segment_fixed_size: 0
    .sgpr_count:     38
    .sgpr_spill_count: 0
    .symbol:         _ZN2at6native12_GLOBAL__N_125multi_tensor_apply_kernelINS1_32FusedOptimizerTensorListMetadataILi4EEENS1_20FusedAdamMathFunctorIfLi4ELNS0_9ADAM_MODEE1ELb0EEEJPKfdddddbS9_S9_EEEvT_T0_DpT1_.kd
    .uniform_work_group_size: 1
    .uses_dynamic_stack: false
    .vgpr_count:     63
    .vgpr_spill_count: 0
    .wavefront_size: 32
  - .args:
      - .offset:         0
        .size:           3336
        .value_kind:     by_value
      - .offset:         3336
        .size:           1
        .value_kind:     by_value
      - .address_space:  global
        .offset:         3344
        .size:           8
        .value_kind:     global_buffer
      - .offset:         3352
        .size:           8
        .value_kind:     by_value
      - .offset:         3360
        .size:           8
        .value_kind:     by_value
      - .offset:         3368
        .size:           8
        .value_kind:     by_value
      - .offset:         3376
        .size:           8
        .value_kind:     by_value
      - .offset:         3384
        .size:           8
        .value_kind:     by_value
      - .offset:         3392
        .size:           1
        .value_kind:     by_value
      - .address_space:  global
        .offset:         3400
        .size:           8
        .value_kind:     global_buffer
      - .address_space:  global
        .offset:         3408
        .size:           8
        .value_kind:     global_buffer
      - .offset:         3416
        .size:           4
        .value_kind:     hidden_block_count_x
      - .offset:         3420
        .size:           4
        .value_kind:     hidden_block_count_y
      - .offset:         3424
        .size:           4
        .value_kind:     hidden_block_count_z
      - .offset:         3428
        .size:           2
        .value_kind:     hidden_group_size_x
      - .offset:         3430
        .size:           2
        .value_kind:     hidden_group_size_y
      - .offset:         3432
        .size:           2
        .value_kind:     hidden_group_size_z
      - .offset:         3434
        .size:           2
        .value_kind:     hidden_remainder_x
      - .offset:         3436
        .size:           2
        .value_kind:     hidden_remainder_y
      - .offset:         3438
        .size:           2
        .value_kind:     hidden_remainder_z
      - .offset:         3456
        .size:           8
        .value_kind:     hidden_global_offset_x
      - .offset:         3464
        .size:           8
        .value_kind:     hidden_global_offset_y
      - .offset:         3472
        .size:           8
        .value_kind:     hidden_global_offset_z
      - .offset:         3480
        .size:           2
        .value_kind:     hidden_grid_dims
    .group_segment_fixed_size: 0
    .kernarg_segment_align: 8
    .kernarg_segment_size: 3672
    .language:       OpenCL C
    .language_version:
      - 2
      - 0
    .max_flat_workgroup_size: 512
    .name:           _ZN2at6native12_GLOBAL__N_125multi_tensor_apply_kernelINS1_32FusedOptimizerTensorListMetadataILi4EEENS1_20FusedAdamMathFunctorIN3c104HalfELi4ELNS0_9ADAM_MODEE1ELb0EEEJPKfdddddbSB_SB_EEEvT_T0_DpT1_
    .private_segment_fixed_size: 0
    .sgpr_count:     40
    .sgpr_spill_count: 0
    .symbol:         _ZN2at6native12_GLOBAL__N_125multi_tensor_apply_kernelINS1_32FusedOptimizerTensorListMetadataILi4EEENS1_20FusedAdamMathFunctorIN3c104HalfELi4ELNS0_9ADAM_MODEE1ELb0EEEJPKfdddddbSB_SB_EEEvT_T0_DpT1_.kd
    .uniform_work_group_size: 1
    .uses_dynamic_stack: false
    .vgpr_count:     72
    .vgpr_spill_count: 0
    .wavefront_size: 32
  - .args:
      - .offset:         0
        .size:           3336
        .value_kind:     by_value
      - .offset:         3336
        .size:           1
        .value_kind:     by_value
      - .address_space:  global
        .offset:         3344
        .size:           8
        .value_kind:     global_buffer
      - .offset:         3352
        .size:           8
        .value_kind:     by_value
      - .offset:         3360
        .size:           8
        .value_kind:     by_value
      - .offset:         3368
        .size:           8
        .value_kind:     by_value
      - .offset:         3376
        .size:           8
        .value_kind:     by_value
      - .offset:         3384
        .size:           8
        .value_kind:     by_value
      - .offset:         3392
        .size:           1
        .value_kind:     by_value
      - .address_space:  global
        .offset:         3400
        .size:           8
        .value_kind:     global_buffer
      - .address_space:  global
        .offset:         3408
        .size:           8
        .value_kind:     global_buffer
      - .offset:         3416
        .size:           4
        .value_kind:     hidden_block_count_x
      - .offset:         3420
        .size:           4
        .value_kind:     hidden_block_count_y
      - .offset:         3424
        .size:           4
        .value_kind:     hidden_block_count_z
      - .offset:         3428
        .size:           2
        .value_kind:     hidden_group_size_x
      - .offset:         3430
        .size:           2
        .value_kind:     hidden_group_size_y
      - .offset:         3432
        .size:           2
        .value_kind:     hidden_group_size_z
      - .offset:         3434
        .size:           2
        .value_kind:     hidden_remainder_x
      - .offset:         3436
        .size:           2
        .value_kind:     hidden_remainder_y
      - .offset:         3438
        .size:           2
        .value_kind:     hidden_remainder_z
      - .offset:         3456
        .size:           8
        .value_kind:     hidden_global_offset_x
      - .offset:         3464
        .size:           8
        .value_kind:     hidden_global_offset_y
      - .offset:         3472
        .size:           8
        .value_kind:     hidden_global_offset_z
      - .offset:         3480
        .size:           2
        .value_kind:     hidden_grid_dims
    .group_segment_fixed_size: 0
    .kernarg_segment_align: 8
    .kernarg_segment_size: 3672
    .language:       OpenCL C
    .language_version:
      - 2
      - 0
    .max_flat_workgroup_size: 512
    .name:           _ZN2at6native12_GLOBAL__N_125multi_tensor_apply_kernelINS1_32FusedOptimizerTensorListMetadataILi4EEENS1_20FusedAdamMathFunctorIN3c108BFloat16ELi4ELNS0_9ADAM_MODEE1ELb0EEEJPKfdddddbSB_SB_EEEvT_T0_DpT1_
    .private_segment_fixed_size: 0
    .sgpr_count:     31
    .sgpr_spill_count: 0
    .symbol:         _ZN2at6native12_GLOBAL__N_125multi_tensor_apply_kernelINS1_32FusedOptimizerTensorListMetadataILi4EEENS1_20FusedAdamMathFunctorIN3c108BFloat16ELi4ELNS0_9ADAM_MODEE1ELb0EEEJPKfdddddbSB_SB_EEEvT_T0_DpT1_.kd
    .uniform_work_group_size: 1
    .uses_dynamic_stack: false
    .vgpr_count:     71
    .vgpr_spill_count: 0
    .wavefront_size: 32
amdhsa.target:   amdgcn-amd-amdhsa--gfx1250
amdhsa.version:
  - 1
  - 2
...

	.end_amdgpu_metadata
